;; amdgpu-corpus repo=vllm-project/vllm kind=compiled arch=gfx1100 opt=O3
	.text
	.amdgcn_target "amdgcn-amd-amdhsa--gfx1100"
	.amdhsa_code_object_version 6
	.section	.text._ZN4vllm24act_and_mul_quant_kernelIfTnPFT_RKS1_EXadL_ZNS_11silu_kernelIfEES1_S3_EEN3c1013Float8_e4m3fnEEEvPT1_PS2_PKfi,"axG",@progbits,_ZN4vllm24act_and_mul_quant_kernelIfTnPFT_RKS1_EXadL_ZNS_11silu_kernelIfEES1_S3_EEN3c1013Float8_e4m3fnEEEvPT1_PS2_PKfi,comdat
	.protected	_ZN4vllm24act_and_mul_quant_kernelIfTnPFT_RKS1_EXadL_ZNS_11silu_kernelIfEES1_S3_EEN3c1013Float8_e4m3fnEEEvPT1_PS2_PKfi ; -- Begin function _ZN4vllm24act_and_mul_quant_kernelIfTnPFT_RKS1_EXadL_ZNS_11silu_kernelIfEES1_S3_EEN3c1013Float8_e4m3fnEEEvPT1_PS2_PKfi
	.globl	_ZN4vllm24act_and_mul_quant_kernelIfTnPFT_RKS1_EXadL_ZNS_11silu_kernelIfEES1_S3_EEN3c1013Float8_e4m3fnEEEvPT1_PS2_PKfi
	.p2align	8
	.type	_ZN4vllm24act_and_mul_quant_kernelIfTnPFT_RKS1_EXadL_ZNS_11silu_kernelIfEES1_S3_EEN3c1013Float8_e4m3fnEEEvPT1_PS2_PKfi,@function
_ZN4vllm24act_and_mul_quant_kernelIfTnPFT_RKS1_EXadL_ZNS_11silu_kernelIfEES1_S3_EEN3c1013Float8_e4m3fnEEEvPT1_PS2_PKfi: ; @_ZN4vllm24act_and_mul_quant_kernelIfTnPFT_RKS1_EXadL_ZNS_11silu_kernelIfEES1_S3_EEN3c1013Float8_e4m3fnEEEvPT1_PS2_PKfi
; %bb.0:
	s_clause 0x1
	s_load_b32 s3, s[0:1], 0x24
	s_load_b32 s16, s[0:1], 0x18
	s_add_u32 s8, s0, 32
	s_addc_u32 s9, s1, 0
	s_mov_b32 s2, s15
	s_waitcnt lgkmcnt(0)
	s_abs_i32 s10, s3
	s_add_i32 s6, s16, s3
	v_cvt_f32_u32_e32 v1, s10
	s_sub_i32 s5, 0, s10
	s_add_i32 s11, s6, -1
	s_delay_alu instid0(SALU_CYCLE_1) | instskip(NEXT) | instid1(VALU_DEP_1)
	s_abs_i32 s12, s11
	v_rcp_iflag_f32_e32 v1, v1
	s_xor_b32 s3, s11, s3
	s_delay_alu instid0(SALU_CYCLE_1) | instskip(SKIP_2) | instid1(VALU_DEP_1)
	s_ashr_i32 s3, s3, 31
	s_waitcnt_depctr 0xfff
	v_mul_f32_e32 v1, 0x4f7ffffe, v1
	v_cvt_u32_f32_e32 v1, v1
	s_delay_alu instid0(VALU_DEP_1) | instskip(NEXT) | instid1(VALU_DEP_1)
	v_readfirstlane_b32 s4, v1
	s_mul_i32 s5, s5, s4
	s_delay_alu instid0(SALU_CYCLE_1) | instskip(NEXT) | instid1(SALU_CYCLE_1)
	s_mul_hi_u32 s5, s4, s5
	s_add_i32 s13, s4, s5
	s_load_b128 s[4:7], s[0:1], 0x0
	s_mul_hi_u32 s13, s12, s13
	s_delay_alu instid0(SALU_CYCLE_1) | instskip(NEXT) | instid1(SALU_CYCLE_1)
	s_mul_i32 s11, s13, s10
	s_sub_i32 s11, s12, s11
	s_add_i32 s12, s13, 1
	s_sub_i32 s15, s11, s10
	s_cmp_ge_u32 s11, s10
	s_cselect_b32 s12, s12, s13
	s_cselect_b32 s11, s15, s11
	s_add_i32 s13, s12, 1
	s_cmp_ge_u32 s11, s10
	s_mov_b32 s15, 0
	s_cselect_b32 s10, s13, s12
	s_delay_alu instid0(SALU_CYCLE_1) | instskip(NEXT) | instid1(SALU_CYCLE_1)
	s_xor_b32 s10, s10, s3
	s_sub_i32 s3, s10, s3
	s_delay_alu instid0(SALU_CYCLE_1) | instskip(NEXT) | instid1(SALU_CYCLE_1)
	s_and_b32 s10, s3, 3
	s_cmp_eq_u32 s10, 0
	s_cbranch_scc1 .LBB0_2
; %bb.1:
	s_ashr_i32 s10, s3, 31
	s_delay_alu instid0(SALU_CYCLE_1) | instskip(NEXT) | instid1(SALU_CYCLE_1)
	s_lshr_b32 s10, s10, 30
	s_add_i32 s3, s3, s10
	s_delay_alu instid0(SALU_CYCLE_1) | instskip(NEXT) | instid1(SALU_CYCLE_1)
	s_and_b32 s3, s3, -4
	s_add_i32 s3, s3, 4
.LBB0_2:
	s_load_b64 s[0:1], s[0:1], 0x10
	s_mul_i32 s10, s3, s2
	s_ashr_i32 s17, s16, 31
	s_add_i32 s2, s10, s3
	s_mul_hi_u32 s12, s16, s14
	s_min_i32 s2, s2, s16
	s_mul_i32 s13, s17, s14
	s_abs_i32 s3, s2
	s_mov_b32 s18, exec_lo
	v_cvt_f32_u32_e32 v1, s3
	s_sub_i32 s11, 0, s3
	s_delay_alu instid0(VALU_DEP_1) | instskip(SKIP_4) | instid1(VALU_DEP_1)
	v_rcp_iflag_f32_e32 v1, v1
	s_waitcnt lgkmcnt(0)
	s_load_b32 s1, s[0:1], 0x0
	s_waitcnt_depctr 0xfff
	v_mul_f32_e32 v1, 0x4f7ffffe, v1
	v_cvt_u32_f32_e32 v1, v1
	s_delay_alu instid0(VALU_DEP_1) | instskip(NEXT) | instid1(VALU_DEP_1)
	v_readfirstlane_b32 s0, v1
	s_mul_i32 s11, s11, s0
	s_waitcnt lgkmcnt(0)
	v_div_scale_f32 v2, null, s1, s1, 1.0
	s_mul_hi_u32 s11, s0, s11
	v_div_scale_f32 v4, vcc_lo, 1.0, s1, 1.0
	s_delay_alu instid0(VALU_DEP_2) | instskip(SKIP_3) | instid1(SALU_CYCLE_1)
	v_rcp_f32_e32 v1, v2
	s_add_i32 s0, s0, s11
	s_add_i32 s11, s12, s13
	s_lshr_b32 s0, s0, 30
	s_mul_i32 s0, s0, s3
	s_delay_alu instid0(SALU_CYCLE_1) | instskip(NEXT) | instid1(SALU_CYCLE_1)
	s_sub_i32 s0, 4, s0
	s_sub_i32 s12, s0, s3
	s_waitcnt_depctr 0xfff
	v_fma_f32 v3, -v2, v1, 1.0
	s_cmp_ge_u32 s0, s3
	s_cselect_b32 s0, s12, s0
	s_delay_alu instid0(SALU_CYCLE_1) | instskip(NEXT) | instid1(VALU_DEP_1)
	s_sub_i32 s12, s0, s3
	v_fmac_f32_e32 v1, v3, v1
	s_cmp_ge_u32 s0, s3
	s_cselect_b32 s3, s12, s0
	s_delay_alu instid0(VALU_DEP_1) | instskip(SKIP_3) | instid1(VALU_DEP_1)
	v_mul_f32_e32 v3, v4, v1
	s_cmp_eq_u32 s3, 0
	s_cselect_b32 s0, -1, 0
	s_ashr_i32 s12, s10, 31
	v_fma_f32 v5, -v2, v3, v4
	s_lshr_b32 s12, s12, 30
	v_cndmask_b32_e64 v18, 0, 1, s0
	s_add_i32 s10, s10, s12
	s_delay_alu instid0(VALU_DEP_2) | instskip(SKIP_3) | instid1(VALU_DEP_2)
	v_fmac_f32_e32 v3, v5, v1
	s_ashr_i32 s0, s10, 2
	s_mul_i32 s10, s16, s14
	v_add_nc_u32_e32 v19, s0, v0
	v_fma_f32 v2, -v2, v3, v4
	s_delay_alu instid0(VALU_DEP_1) | instskip(NEXT) | instid1(VALU_DEP_1)
	v_div_fmas_f32 v1, v2, v1, v3
	v_div_fixup_f32 v17, v1, s1, 1.0
	s_delay_alu instid0(VALU_DEP_4)
	v_cmpx_lt_i32_e64 v19, v18
	s_cbranch_execz .LBB0_69
; %bb.3:
	s_load_b32 s1, s[8:9], 0xc
	s_ashr_i32 s22, s0, 31
	v_add_co_u32 v1, s0, s0, v0
	s_delay_alu instid0(VALU_DEP_1)
	v_add_co_ci_u32_e64 v2, null, s22, 0, s0
	s_lshl_b64 s[20:21], s[14:15], 3
	s_lshl_b64 s[12:13], s[10:11], 3
	s_or_b32 s0, s20, 4
	s_mul_i32 s20, s21, s16
	s_mul_i32 s21, s0, s17
	s_mul_hi_u32 s22, s0, s16
	v_lshlrev_b64 v[3:4], 4, v[1:2]
	s_add_i32 s21, s22, s21
	v_lshlrev_b64 v[1:2], 3, v[1:2]
	s_add_i32 s20, s21, s20
	v_mov_b32_e32 v12, 0
	s_mov_b32 s19, 0
	v_add_co_u32 v20, vcc_lo, s6, v3
	s_waitcnt lgkmcnt(0)
	s_and_b32 s21, s1, 0xffff
	v_add_co_ci_u32_e32 v21, vcc_lo, s7, v4, vcc_lo
	s_lshl_b32 s22, s21, 4
	s_add_u32 s1, s4, s10
	s_addc_u32 s23, s5, s11
	v_add_co_u32 v9, vcc_lo, s1, v1
	v_add_co_ci_u32_e32 v10, vcc_lo, s23, v2, vcc_lo
	s_mul_i32 s23, s0, s16
	s_lshl_b32 s24, s21, 3
	s_mov_b32 s25, 0x43e00000
	s_branch .LBB0_5
.LBB0_4:                                ;   in Loop: Header=BB0_5 Depth=1
	s_or_b32 exec_lo, exec_lo, s0
	v_lshlrev_b32_e32 v2, 16, v2
	v_lshlrev_b32_e32 v1, 8, v1
	v_add_nc_u32_e32 v19, s21, v19
	v_add_co_u32 v20, vcc_lo, v20, s22
	s_delay_alu instid0(VALU_DEP_4) | instskip(SKIP_1) | instid1(VALU_DEP_4)
	v_perm_b32 v2, v4, v2, 0x4020c0c
	v_add_co_ci_u32_e32 v21, vcc_lo, 0, v21, vcc_lo
	v_cmp_ge_i32_e32 vcc_lo, v19, v18
	s_delay_alu instid0(VALU_DEP_3) | instskip(SKIP_1) | instid1(VALU_DEP_1)
	v_and_or_b32 v1, 0xff00, v1, v2
	s_or_b32 s19, vcc_lo, s19
	v_and_or_b32 v11, 0xff, v13, v1
	global_store_b64 v[9:10], v[11:12], off
	v_add_co_u32 v9, s0, v9, s24
	s_delay_alu instid0(VALU_DEP_1)
	v_add_co_ci_u32_e64 v10, s0, 0, v10, s0
	s_and_not1_b32 exec_lo, exec_lo, s19
	s_cbranch_execz .LBB0_69
.LBB0_5:                                ; =>This Inner Loop Header: Depth=1
	v_add_co_u32 v1, vcc_lo, v20, s12
	v_add_co_ci_u32_e32 v2, vcc_lo, s13, v21, vcc_lo
	v_add_co_u32 v5, vcc_lo, v20, s23
	v_add_co_ci_u32_e32 v6, vcc_lo, s20, v21, vcc_lo
	global_load_b128 v[1:4], v[1:2], off
	s_mov_b32 s0, exec_lo
	global_load_b128 v[5:8], v[5:6], off
	s_waitcnt vmcnt(1)
	v_mul_f32_e32 v11, 0xbfb8aa3b, v1
	v_cmp_nlt_f32_e32 vcc_lo, 0x42ce8ed0, v1
	s_delay_alu instid0(VALU_DEP_2) | instskip(SKIP_1) | instid1(VALU_DEP_2)
	v_fma_f32 v13, 0xbfb8aa3b, v1, -v11
	v_rndne_f32_e32 v14, v11
	v_fmac_f32_e32 v13, 0xb2a5705f, v1
	s_delay_alu instid0(VALU_DEP_2) | instskip(NEXT) | instid1(VALU_DEP_1)
	v_sub_f32_e32 v11, v11, v14
	v_add_f32_e32 v11, v11, v13
	v_cvt_i32_f32_e32 v13, v14
	s_delay_alu instid0(VALU_DEP_2) | instskip(SKIP_2) | instid1(VALU_DEP_1)
	v_exp_f32_e32 v11, v11
	s_waitcnt_depctr 0xfff
	v_ldexp_f32 v11, v11, v13
	v_cndmask_b32_e32 v11, 0, v11, vcc_lo
	v_cmp_ngt_f32_e32 vcc_lo, 0xc2b17218, v1
	s_delay_alu instid0(VALU_DEP_2) | instskip(NEXT) | instid1(VALU_DEP_1)
	v_cndmask_b32_e32 v11, 0x7f800000, v11, vcc_lo
	v_add_f32_e32 v11, 1.0, v11
	s_delay_alu instid0(VALU_DEP_1) | instskip(NEXT) | instid1(VALU_DEP_1)
	v_div_scale_f32 v13, null, v11, v11, v1
	v_rcp_f32_e32 v14, v13
	s_waitcnt_depctr 0xfff
	v_fma_f32 v15, -v13, v14, 1.0
	s_delay_alu instid0(VALU_DEP_1) | instskip(SKIP_1) | instid1(VALU_DEP_1)
	v_fmac_f32_e32 v14, v15, v14
	v_div_scale_f32 v15, vcc_lo, v1, v11, v1
	v_mul_f32_e32 v16, v15, v14
	s_delay_alu instid0(VALU_DEP_1) | instskip(NEXT) | instid1(VALU_DEP_1)
	v_fma_f32 v22, -v13, v16, v15
	v_fmac_f32_e32 v16, v22, v14
	s_delay_alu instid0(VALU_DEP_1) | instskip(NEXT) | instid1(VALU_DEP_1)
	v_fma_f32 v13, -v13, v16, v15
	v_div_fmas_f32 v13, v13, v14, v16
	v_mov_b32_e32 v16, v12
	s_delay_alu instid0(VALU_DEP_2) | instskip(SKIP_1) | instid1(VALU_DEP_1)
	v_div_fixup_f32 v1, v13, v11, v1
	s_waitcnt vmcnt(0)
	v_mul_f32_e32 v1, v5, v1
	s_delay_alu instid0(VALU_DEP_1) | instskip(NEXT) | instid1(VALU_DEP_1)
	v_mul_f32_e32 v1, v17, v1
	v_minmax_f32 v5, v1, s25, 0xc3e00000
	s_delay_alu instid0(VALU_DEP_1) | instskip(SKIP_2) | instid1(VALU_DEP_3)
	v_lshrrev_b32_e32 v14, 24, v5
	v_and_b32_e32 v15, 0x7f800000, v5
	v_and_b32_e32 v11, 0x7fffff, v5
	;; [unrolled: 1-line block ×3, first 2 shown]
	s_delay_alu instid0(VALU_DEP_1) | instskip(NEXT) | instid1(VALU_DEP_4)
	v_or_b32_e32 v13, 0x7e, v1
	v_cmpx_ne_u64_e32 0x7f800000, v[15:16]
	s_xor_b32 s26, exec_lo, s0
	s_cbranch_execz .LBB0_19
; %bb.6:                                ;   in Loop: Header=BB0_5 Depth=1
	v_dual_mov_b32 v15, v12 :: v_dual_and_b32 v14, 0x7fffffff, v5
	s_mov_b32 s0, exec_lo
	s_delay_alu instid0(VALU_DEP_1)
	v_cmpx_gt_u64_e32 0x43e00001, v[14:15]
	s_xor_b32 s27, exec_lo, s0
	s_cbranch_execz .LBB0_18
; %bb.7:                                ;   in Loop: Header=BB0_5 Depth=1
	s_mov_b32 s28, exec_lo
	v_mov_b32_e32 v13, 0
	v_mov_b32_e32 v14, 0
	v_cmpx_ne_u32_e32 0, v5
	s_cbranch_execz .LBB0_17
; %bb.8:                                ;   in Loop: Header=BB0_5 Depth=1
	v_bfe_u32 v5, v5, 23, 8
	s_delay_alu instid0(VALU_DEP_1) | instskip(SKIP_2) | instid1(VALU_DEP_3)
	v_sub_nc_u32_e64 v13, 0x79, v5 clamp
	v_cmp_eq_u32_e32 vcc_lo, 0, v5
	v_add_nc_u32_e32 v5, 0xffffff88, v5
	v_cndmask_b32_e64 v24, v13, 0x78, vcc_lo
	v_or_b32_e32 v13, 0x800000, v11
	s_delay_alu instid0(VALU_DEP_3) | instskip(NEXT) | instid1(VALU_DEP_2)
	v_cndmask_b32_e64 v5, v5, 0xffffff89, vcc_lo
	v_dual_cndmask_b32 v11, v13, v11 :: v_dual_add_nc_u32 v14, 20, v24
	v_add_nc_u32_e32 v15, 19, v24
	s_delay_alu instid0(VALU_DEP_2) | instskip(NEXT) | instid1(VALU_DEP_3)
	v_lshlrev_b64 v[13:14], v14, -1
	v_lshrrev_b64 v[22:23], v24, v[11:12]
	s_delay_alu instid0(VALU_DEP_2) | instskip(NEXT) | instid1(VALU_DEP_3)
	v_not_b32_e32 v16, v14
	v_not_b32_e32 v25, v13
	v_lshlrev_b64 v[13:14], v15, 1
	s_delay_alu instid0(VALU_DEP_3) | instskip(NEXT) | instid1(VALU_DEP_3)
	v_and_b32_e32 v16, 0, v16
	v_and_b32_e32 v15, v11, v25
	;; [unrolled: 1-line block ×3, first 2 shown]
	s_delay_alu instid0(VALU_DEP_2) | instskip(NEXT) | instid1(VALU_DEP_2)
	v_cmp_eq_u64_e64 s0, v[15:16], v[13:14]
	v_cmp_eq_u64_e64 s1, 0, v[11:12]
	v_lshrrev_b32_e32 v11, 23, v22
	s_delay_alu instid0(VALU_DEP_1) | instskip(NEXT) | instid1(VALU_DEP_3)
	v_add3_u32 v15, v5, v24, v11
	s_and_b32 vcc_lo, s1, s0
	s_mov_b32 s0, exec_lo
	v_subrev_co_ci_u32_e32 v13, vcc_lo, 0, v22, vcc_lo
	s_delay_alu instid0(VALU_DEP_2) | instskip(NEXT) | instid1(VALU_DEP_2)
	v_add_nc_u32_e32 v16, -1, v15
	v_and_b32_e32 v5, 0xfffff, v13
	s_delay_alu instid0(VALU_DEP_1) | instskip(SKIP_1) | instid1(VALU_DEP_4)
	v_add_co_u32 v13, vcc_lo, v5, v22
	v_add_co_ci_u32_e32 v14, vcc_lo, 0, v23, vcc_lo
                                        ; implicit-def: $vgpr5
	v_cmpx_ne_u32_e32 0, v16
	s_xor_b32 s0, exec_lo, s0
; %bb.9:                                ;   in Loop: Header=BB0_5 Depth=1
	s_delay_alu instid0(VALU_DEP_3) | instskip(SKIP_1) | instid1(VALU_DEP_2)
	v_and_b32_e32 v11, 0x1000000, v13
	v_bfe_u32 v5, v13, 24, 1
	v_cmp_eq_u64_e32 vcc_lo, 0, v[11:12]
	s_delay_alu instid0(VALU_DEP_2)
	v_lshrrev_b64 v[13:14], v5, v[13:14]
	v_cndmask_b32_e32 v5, v15, v16, vcc_lo
; %bb.10:                               ;   in Loop: Header=BB0_5 Depth=1
	s_and_not1_saveexec_b32 s0, s0
; %bb.11:                               ;   in Loop: Header=BB0_5 Depth=1
	s_delay_alu instid0(VALU_DEP_2)
	v_bfe_u32 v5, v13, 23, 1
; %bb.12:                               ;   in Loop: Header=BB0_5 Depth=1
	s_or_b32 exec_lo, exec_lo, s0
	s_delay_alu instid0(VALU_DEP_3) | instskip(NEXT) | instid1(VALU_DEP_2)
	v_lshrrev_b64 v[13:14], 20, v[13:14]
	v_cmp_gt_i32_e32 vcc_lo, 16, v5
	v_cmp_ne_u32_e64 s0, 0, v5
	s_delay_alu instid0(VALU_DEP_3) | instskip(NEXT) | instid1(VALU_DEP_1)
	v_dual_cndmask_b32 v16, 0, v14 :: v_dual_cndmask_b32 v15, 7, v13
                                        ; implicit-def: $vgpr13_vgpr14
	v_cmp_ne_u64_e32 vcc_lo, 0, v[15:16]
	s_delay_alu instid0(VALU_DEP_3) | instskip(NEXT) | instid1(SALU_CYCLE_1)
	s_or_b32 s0, s0, vcc_lo
	s_and_saveexec_b32 s1, s0
	s_delay_alu instid0(SALU_CYCLE_1)
	s_xor_b32 s0, exec_lo, s1
; %bb.13:                               ;   in Loop: Header=BB0_5 Depth=1
	v_min_i32_e32 v5, 15, v5
	s_delay_alu instid0(VALU_DEP_1) | instskip(NEXT) | instid1(VALU_DEP_1)
	v_lshl_or_b32 v1, v5, 3, v1
	v_and_or_b32 v13, v15, 7, v1
                                        ; implicit-def: $vgpr1
; %bb.14:                               ;   in Loop: Header=BB0_5 Depth=1
	s_and_not1_saveexec_b32 s0, s0
; %bb.15:                               ;   in Loop: Header=BB0_5 Depth=1
	v_dual_mov_b32 v14, v2 :: v_dual_mov_b32 v13, v1
; %bb.16:                               ;   in Loop: Header=BB0_5 Depth=1
	s_or_b32 exec_lo, exec_lo, s0
.LBB0_17:                               ;   in Loop: Header=BB0_5 Depth=1
	s_delay_alu instid0(SALU_CYCLE_1)
	s_or_b32 exec_lo, exec_lo, s28
.LBB0_18:                               ;   in Loop: Header=BB0_5 Depth=1
	s_and_not1_saveexec_b32 s0, s27
	s_delay_alu instid0(SALU_CYCLE_1)
	s_or_b32 exec_lo, exec_lo, s0
                                        ; implicit-def: $vgpr14
.LBB0_19:                               ;   in Loop: Header=BB0_5 Depth=1
	s_and_not1_saveexec_b32 s0, s26
; %bb.20:                               ;   in Loop: Header=BB0_5 Depth=1
	v_cmp_eq_u64_e32 vcc_lo, 0, v[11:12]
	v_or_b32_e32 v1, 0x7f, v14
	s_delay_alu instid0(VALU_DEP_1)
	v_cndmask_b32_e32 v13, v1, v13, vcc_lo
; %bb.21:                               ;   in Loop: Header=BB0_5 Depth=1
	s_or_b32 exec_lo, exec_lo, s0
	v_mul_f32_e32 v1, 0xbfb8aa3b, v2
	v_cmp_nlt_f32_e32 vcc_lo, 0x42ce8ed0, v2
	s_mov_b32 s0, exec_lo
	s_delay_alu instid0(VALU_DEP_2) | instskip(SKIP_1) | instid1(VALU_DEP_2)
	v_rndne_f32_e32 v5, v1
	v_fma_f32 v11, 0xbfb8aa3b, v2, -v1
	v_sub_f32_e32 v1, v1, v5
	s_delay_alu instid0(VALU_DEP_2) | instskip(SKIP_1) | instid1(VALU_DEP_2)
	v_fmac_f32_e32 v11, 0xb2a5705f, v2
	v_cvt_i32_f32_e32 v5, v5
	v_add_f32_e32 v1, v1, v11
	s_delay_alu instid0(VALU_DEP_1) | instskip(SKIP_2) | instid1(VALU_DEP_1)
	v_exp_f32_e32 v1, v1
	s_waitcnt_depctr 0xfff
	v_ldexp_f32 v1, v1, v5
	v_cndmask_b32_e32 v1, 0, v1, vcc_lo
	v_cmp_ngt_f32_e32 vcc_lo, 0xc2b17218, v2
	s_delay_alu instid0(VALU_DEP_2) | instskip(NEXT) | instid1(VALU_DEP_1)
	v_cndmask_b32_e32 v1, 0x7f800000, v1, vcc_lo
	v_add_f32_e32 v1, 1.0, v1
	s_delay_alu instid0(VALU_DEP_1) | instskip(NEXT) | instid1(VALU_DEP_1)
	v_div_scale_f32 v5, null, v1, v1, v2
	v_rcp_f32_e32 v11, v5
	s_waitcnt_depctr 0xfff
	v_fma_f32 v14, -v5, v11, 1.0
	s_delay_alu instid0(VALU_DEP_1) | instskip(SKIP_1) | instid1(VALU_DEP_1)
	v_fmac_f32_e32 v11, v14, v11
	v_div_scale_f32 v14, vcc_lo, v2, v1, v2
	v_mul_f32_e32 v15, v14, v11
	s_delay_alu instid0(VALU_DEP_1) | instskip(NEXT) | instid1(VALU_DEP_1)
	v_fma_f32 v16, -v5, v15, v14
	v_fmac_f32_e32 v15, v16, v11
	s_delay_alu instid0(VALU_DEP_1) | instskip(NEXT) | instid1(VALU_DEP_1)
	v_fma_f32 v5, -v5, v15, v14
	v_div_fmas_f32 v5, v5, v11, v15
	v_mov_b32_e32 v15, v12
	s_delay_alu instid0(VALU_DEP_2) | instskip(NEXT) | instid1(VALU_DEP_1)
	v_div_fixup_f32 v1, v5, v1, v2
	v_mul_f32_e32 v1, v6, v1
	s_delay_alu instid0(VALU_DEP_1) | instskip(NEXT) | instid1(VALU_DEP_1)
	v_mul_f32_e32 v1, v17, v1
	v_minmax_f32 v6, v1, s25, 0xc3e00000
	s_delay_alu instid0(VALU_DEP_1) | instskip(SKIP_2) | instid1(VALU_DEP_2)
	v_and_b32_e32 v14, 0x7f800000, v6
	v_lshrrev_b32_e32 v2, 24, v6
	v_and_b32_e32 v11, 0x7fffff, v6
	v_and_b32_e32 v5, 0x80, v2
	s_delay_alu instid0(VALU_DEP_1)
	v_or_b32_e32 v1, 0x7e, v5
	v_cmpx_ne_u64_e32 0x7f800000, v[14:15]
	s_xor_b32 s26, exec_lo, s0
	s_cbranch_execz .LBB0_35
; %bb.22:                               ;   in Loop: Header=BB0_5 Depth=1
	v_dual_mov_b32 v15, v12 :: v_dual_and_b32 v14, 0x7fffffff, v6
	s_mov_b32 s0, exec_lo
	s_delay_alu instid0(VALU_DEP_1)
	v_cmpx_gt_u64_e32 0x43e00001, v[14:15]
	s_xor_b32 s27, exec_lo, s0
	s_cbranch_execz .LBB0_34
; %bb.23:                               ;   in Loop: Header=BB0_5 Depth=1
	s_mov_b32 s28, exec_lo
	v_mov_b32_e32 v1, 0
	v_mov_b32_e32 v2, 0
	v_cmpx_ne_u32_e32 0, v6
	s_cbranch_execz .LBB0_33
; %bb.24:                               ;   in Loop: Header=BB0_5 Depth=1
	v_bfe_u32 v6, v6, 23, 8
	s_delay_alu instid0(VALU_DEP_1) | instskip(SKIP_2) | instid1(VALU_DEP_3)
	v_sub_nc_u32_e64 v1, 0x79, v6 clamp
	v_cmp_eq_u32_e32 vcc_lo, 0, v6
	v_add_nc_u32_e32 v6, 0xffffff88, v6
	v_cndmask_b32_e64 v16, v1, 0x78, vcc_lo
	v_or_b32_e32 v1, 0x800000, v11
	s_delay_alu instid0(VALU_DEP_1) | instskip(SKIP_1) | instid1(VALU_DEP_2)
	v_dual_cndmask_b32 v11, v1, v11 :: v_dual_add_nc_u32 v2, 20, v16
	v_add_nc_u32_e32 v14, 19, v16
	v_lshlrev_b64 v[1:2], v2, -1
	s_delay_alu instid0(VALU_DEP_3) | instskip(NEXT) | instid1(VALU_DEP_2)
	v_lshrrev_b64 v[22:23], v16, v[11:12]
	v_not_b32_e32 v15, v2
	s_delay_alu instid0(VALU_DEP_3) | instskip(SKIP_1) | instid1(VALU_DEP_3)
	v_not_b32_e32 v24, v1
	v_lshlrev_b64 v[1:2], v14, 1
	v_and_b32_e32 v15, 0, v15
	s_delay_alu instid0(VALU_DEP_3) | instskip(SKIP_1) | instid1(VALU_DEP_2)
	v_and_b32_e32 v14, v11, v24
	v_and_b32_e32 v11, 0x100000, v22
	v_cmp_eq_u64_e64 s0, v[14:15], v[1:2]
	s_delay_alu instid0(VALU_DEP_2) | instskip(SKIP_2) | instid1(VALU_DEP_3)
	v_cmp_eq_u64_e64 s1, 0, v[11:12]
	v_cndmask_b32_e64 v1, v6, 0xffffff89, vcc_lo
	v_lshrrev_b32_e32 v2, 23, v22
	s_and_b32 vcc_lo, s1, s0
	s_delay_alu instid0(VALU_DEP_1) | instskip(SKIP_2) | instid1(VALU_DEP_2)
	v_add3_u32 v14, v1, v16, v2
	v_subrev_co_ci_u32_e32 v6, vcc_lo, 0, v22, vcc_lo
	s_mov_b32 s0, exec_lo
	v_add_nc_u32_e32 v15, -1, v14
	s_delay_alu instid0(VALU_DEP_2) | instskip(NEXT) | instid1(VALU_DEP_1)
	v_and_b32_e32 v1, 0xfffff, v6
                                        ; implicit-def: $vgpr6
	v_add_co_u32 v1, vcc_lo, v1, v22
	v_add_co_ci_u32_e32 v2, vcc_lo, 0, v23, vcc_lo
	s_delay_alu instid0(VALU_DEP_4)
	v_cmpx_ne_u32_e32 0, v15
	s_xor_b32 s0, exec_lo, s0
; %bb.25:                               ;   in Loop: Header=BB0_5 Depth=1
	s_delay_alu instid0(VALU_DEP_3) | instskip(SKIP_1) | instid1(VALU_DEP_2)
	v_and_b32_e32 v11, 0x1000000, v1
	v_bfe_u32 v6, v1, 24, 1
	v_cmp_eq_u64_e32 vcc_lo, 0, v[11:12]
	s_delay_alu instid0(VALU_DEP_2)
	v_lshrrev_b64 v[1:2], v6, v[1:2]
	v_cndmask_b32_e32 v6, v14, v15, vcc_lo
; %bb.26:                               ;   in Loop: Header=BB0_5 Depth=1
	s_and_not1_saveexec_b32 s0, s0
; %bb.27:                               ;   in Loop: Header=BB0_5 Depth=1
	s_delay_alu instid0(VALU_DEP_2)
	v_bfe_u32 v6, v1, 23, 1
; %bb.28:                               ;   in Loop: Header=BB0_5 Depth=1
	s_or_b32 exec_lo, exec_lo, s0
	s_delay_alu instid0(VALU_DEP_3) | instskip(NEXT) | instid1(VALU_DEP_2)
	v_lshrrev_b64 v[1:2], 20, v[1:2]
	v_cmp_gt_i32_e32 vcc_lo, 16, v6
	v_cmp_ne_u32_e64 s0, 0, v6
	s_delay_alu instid0(VALU_DEP_3) | instskip(NEXT) | instid1(VALU_DEP_1)
	v_dual_cndmask_b32 v15, 0, v2 :: v_dual_cndmask_b32 v14, 7, v1
                                        ; implicit-def: $vgpr1_vgpr2
	v_cmp_ne_u64_e32 vcc_lo, 0, v[14:15]
	s_delay_alu instid0(VALU_DEP_3) | instskip(NEXT) | instid1(SALU_CYCLE_1)
	s_or_b32 s0, s0, vcc_lo
	s_and_saveexec_b32 s1, s0
	s_delay_alu instid0(SALU_CYCLE_1)
	s_xor_b32 s0, exec_lo, s1
; %bb.29:                               ;   in Loop: Header=BB0_5 Depth=1
	v_min_i32_e32 v1, 15, v6
	s_delay_alu instid0(VALU_DEP_1) | instskip(NEXT) | instid1(VALU_DEP_1)
	v_lshl_or_b32 v1, v1, 3, v5
                                        ; implicit-def: $vgpr5
	v_and_or_b32 v1, v14, 7, v1
; %bb.30:                               ;   in Loop: Header=BB0_5 Depth=1
	s_and_not1_saveexec_b32 s0, s0
; %bb.31:                               ;   in Loop: Header=BB0_5 Depth=1
	v_dual_mov_b32 v1, v5 :: v_dual_mov_b32 v2, v6
; %bb.32:                               ;   in Loop: Header=BB0_5 Depth=1
	s_or_b32 exec_lo, exec_lo, s0
.LBB0_33:                               ;   in Loop: Header=BB0_5 Depth=1
	s_delay_alu instid0(SALU_CYCLE_1)
	s_or_b32 exec_lo, exec_lo, s28
.LBB0_34:                               ;   in Loop: Header=BB0_5 Depth=1
	s_and_not1_saveexec_b32 s0, s27
	s_delay_alu instid0(SALU_CYCLE_1)
	s_or_b32 exec_lo, exec_lo, s0
                                        ; implicit-def: $vgpr2
.LBB0_35:                               ;   in Loop: Header=BB0_5 Depth=1
	s_and_not1_saveexec_b32 s0, s26
; %bb.36:                               ;   in Loop: Header=BB0_5 Depth=1
	v_cmp_eq_u64_e32 vcc_lo, 0, v[11:12]
	v_or_b32_e32 v2, 0x7f, v2
	s_delay_alu instid0(VALU_DEP_1)
	v_cndmask_b32_e32 v1, v2, v1, vcc_lo
; %bb.37:                               ;   in Loop: Header=BB0_5 Depth=1
	s_or_b32 exec_lo, exec_lo, s0
	v_mul_f32_e32 v2, 0xbfb8aa3b, v3
	v_cmp_nlt_f32_e32 vcc_lo, 0x42ce8ed0, v3
	s_mov_b32 s0, exec_lo
	s_delay_alu instid0(VALU_DEP_2) | instskip(SKIP_1) | instid1(VALU_DEP_2)
	v_rndne_f32_e32 v5, v2
	v_fma_f32 v6, 0xbfb8aa3b, v3, -v2
	v_sub_f32_e32 v2, v2, v5
	s_delay_alu instid0(VALU_DEP_2) | instskip(SKIP_1) | instid1(VALU_DEP_2)
	v_fmac_f32_e32 v6, 0xb2a5705f, v3
	v_cvt_i32_f32_e32 v5, v5
	v_add_f32_e32 v2, v2, v6
	s_delay_alu instid0(VALU_DEP_1) | instskip(SKIP_2) | instid1(VALU_DEP_1)
	v_exp_f32_e32 v2, v2
	s_waitcnt_depctr 0xfff
	v_ldexp_f32 v2, v2, v5
	v_cndmask_b32_e32 v2, 0, v2, vcc_lo
	v_cmp_ngt_f32_e32 vcc_lo, 0xc2b17218, v3
	s_delay_alu instid0(VALU_DEP_2) | instskip(NEXT) | instid1(VALU_DEP_1)
	v_cndmask_b32_e32 v2, 0x7f800000, v2, vcc_lo
	v_add_f32_e32 v2, 1.0, v2
	s_delay_alu instid0(VALU_DEP_1) | instskip(NEXT) | instid1(VALU_DEP_1)
	v_div_scale_f32 v5, null, v2, v2, v3
	v_rcp_f32_e32 v6, v5
	s_waitcnt_depctr 0xfff
	v_fma_f32 v11, -v5, v6, 1.0
	s_delay_alu instid0(VALU_DEP_1) | instskip(SKIP_1) | instid1(VALU_DEP_1)
	v_fmac_f32_e32 v6, v11, v6
	v_div_scale_f32 v11, vcc_lo, v3, v2, v3
	v_mul_f32_e32 v14, v11, v6
	s_delay_alu instid0(VALU_DEP_1) | instskip(NEXT) | instid1(VALU_DEP_1)
	v_fma_f32 v15, -v5, v14, v11
	v_dual_fmac_f32 v14, v15, v6 :: v_dual_mov_b32 v15, v12
	s_delay_alu instid0(VALU_DEP_1) | instskip(NEXT) | instid1(VALU_DEP_1)
	v_fma_f32 v5, -v5, v14, v11
	v_div_fmas_f32 v5, v5, v6, v14
	s_delay_alu instid0(VALU_DEP_1) | instskip(NEXT) | instid1(VALU_DEP_1)
	v_div_fixup_f32 v2, v5, v2, v3
	v_mul_f32_e32 v2, v7, v2
	s_delay_alu instid0(VALU_DEP_1) | instskip(NEXT) | instid1(VALU_DEP_1)
	v_mul_f32_e32 v2, v17, v2
	v_minmax_f32 v6, v2, s25, 0xc3e00000
	s_delay_alu instid0(VALU_DEP_1) | instskip(SKIP_2) | instid1(VALU_DEP_3)
	v_lshrrev_b32_e32 v3, 24, v6
	v_and_b32_e32 v14, 0x7f800000, v6
	v_and_b32_e32 v11, 0x7fffff, v6
	;; [unrolled: 1-line block ×3, first 2 shown]
	s_delay_alu instid0(VALU_DEP_1) | instskip(NEXT) | instid1(VALU_DEP_4)
	v_or_b32_e32 v2, 0x7e, v5
	v_cmpx_ne_u64_e32 0x7f800000, v[14:15]
	s_xor_b32 s26, exec_lo, s0
	s_cbranch_execz .LBB0_51
; %bb.38:                               ;   in Loop: Header=BB0_5 Depth=1
	v_dual_mov_b32 v15, v12 :: v_dual_and_b32 v14, 0x7fffffff, v6
	s_mov_b32 s0, exec_lo
	s_delay_alu instid0(VALU_DEP_1)
	v_cmpx_gt_u64_e32 0x43e00001, v[14:15]
	s_xor_b32 s27, exec_lo, s0
	s_cbranch_execz .LBB0_50
; %bb.39:                               ;   in Loop: Header=BB0_5 Depth=1
	s_mov_b32 s28, exec_lo
	v_mov_b32_e32 v2, 0
	v_mov_b32_e32 v3, 0
	v_cmpx_ne_u32_e32 0, v6
	s_cbranch_execz .LBB0_49
; %bb.40:                               ;   in Loop: Header=BB0_5 Depth=1
	v_bfe_u32 v16, v6, 23, 8
	s_delay_alu instid0(VALU_DEP_1) | instskip(SKIP_2) | instid1(VALU_DEP_3)
	v_sub_nc_u32_e64 v2, 0x79, v16 clamp
	v_cmp_eq_u32_e32 vcc_lo, 0, v16
	v_add_nc_u32_e32 v16, 0xffffff88, v16
	v_cndmask_b32_e64 v22, v2, 0x78, vcc_lo
	v_or_b32_e32 v2, 0x800000, v11
	s_delay_alu instid0(VALU_DEP_2) | instskip(NEXT) | instid1(VALU_DEP_2)
	v_add_nc_u32_e32 v3, 20, v22
	v_dual_cndmask_b32 v11, v2, v11 :: v_dual_add_nc_u32 v6, 19, v22
	s_delay_alu instid0(VALU_DEP_2) | instskip(NEXT) | instid1(VALU_DEP_2)
	v_lshlrev_b64 v[2:3], v3, -1
	v_lshrrev_b64 v[14:15], v22, v[11:12]
	s_delay_alu instid0(VALU_DEP_2) | instskip(NEXT) | instid1(VALU_DEP_3)
	v_not_b32_e32 v7, v3
	v_not_b32_e32 v23, v2
	v_lshlrev_b64 v[2:3], v6, 1
	s_delay_alu instid0(VALU_DEP_3) | instskip(NEXT) | instid1(VALU_DEP_3)
	v_and_b32_e32 v7, 0, v7
	v_and_b32_e32 v6, v11, v23
	;; [unrolled: 1-line block ×3, first 2 shown]
	s_delay_alu instid0(VALU_DEP_2) | instskip(NEXT) | instid1(VALU_DEP_2)
	v_cmp_eq_u64_e64 s0, v[6:7], v[2:3]
	v_cmp_eq_u64_e64 s1, 0, v[11:12]
	v_cndmask_b32_e64 v2, v16, 0xffffff89, vcc_lo
	v_lshrrev_b32_e32 v3, 23, v14
                                        ; implicit-def: $vgpr11
	s_delay_alu instid0(VALU_DEP_3) | instskip(NEXT) | instid1(VALU_DEP_1)
	s_and_b32 vcc_lo, s1, s0
	v_add3_u32 v6, v2, v22, v3
	v_subrev_co_ci_u32_e32 v7, vcc_lo, 0, v14, vcc_lo
	s_mov_b32 s0, exec_lo
	s_delay_alu instid0(VALU_DEP_1) | instskip(NEXT) | instid1(VALU_DEP_3)
	v_and_b32_e32 v2, 0xfffff, v7
	v_add_nc_u32_e32 v7, -1, v6
	s_delay_alu instid0(VALU_DEP_2) | instskip(SKIP_1) | instid1(VALU_DEP_3)
	v_add_co_u32 v2, vcc_lo, v2, v14
	v_add_co_ci_u32_e32 v3, vcc_lo, 0, v15, vcc_lo
	v_cmpx_ne_u32_e32 0, v7
	s_xor_b32 s0, exec_lo, s0
; %bb.41:                               ;   in Loop: Header=BB0_5 Depth=1
	s_delay_alu instid0(VALU_DEP_3) | instskip(SKIP_1) | instid1(VALU_DEP_2)
	v_and_b32_e32 v11, 0x1000000, v2
	v_bfe_u32 v14, v2, 24, 1
	v_cmp_eq_u64_e32 vcc_lo, 0, v[11:12]
	s_delay_alu instid0(VALU_DEP_2)
	v_lshrrev_b64 v[2:3], v14, v[2:3]
	v_cndmask_b32_e32 v11, v6, v7, vcc_lo
; %bb.42:                               ;   in Loop: Header=BB0_5 Depth=1
	s_and_not1_saveexec_b32 s0, s0
; %bb.43:                               ;   in Loop: Header=BB0_5 Depth=1
	s_delay_alu instid0(VALU_DEP_2)
	v_bfe_u32 v11, v2, 23, 1
; %bb.44:                               ;   in Loop: Header=BB0_5 Depth=1
	s_or_b32 exec_lo, exec_lo, s0
	s_delay_alu instid0(VALU_DEP_3) | instskip(NEXT) | instid1(VALU_DEP_2)
	v_lshrrev_b64 v[2:3], 20, v[2:3]
	v_cmp_gt_i32_e32 vcc_lo, 16, v11
	v_cmp_ne_u32_e64 s0, 0, v11
	s_delay_alu instid0(VALU_DEP_3) | instskip(NEXT) | instid1(VALU_DEP_1)
	v_dual_cndmask_b32 v7, 0, v3 :: v_dual_cndmask_b32 v6, 7, v2
                                        ; implicit-def: $vgpr2_vgpr3
	v_cmp_ne_u64_e32 vcc_lo, 0, v[6:7]
	s_delay_alu instid0(VALU_DEP_3) | instskip(NEXT) | instid1(SALU_CYCLE_1)
	s_or_b32 s0, s0, vcc_lo
	s_and_saveexec_b32 s1, s0
	s_delay_alu instid0(SALU_CYCLE_1)
	s_xor_b32 s0, exec_lo, s1
; %bb.45:                               ;   in Loop: Header=BB0_5 Depth=1
	v_min_i32_e32 v2, 15, v11
	s_delay_alu instid0(VALU_DEP_1) | instskip(NEXT) | instid1(VALU_DEP_1)
	v_lshl_or_b32 v2, v2, 3, v5
                                        ; implicit-def: $vgpr5
	v_and_or_b32 v2, v6, 7, v2
; %bb.46:                               ;   in Loop: Header=BB0_5 Depth=1
	s_and_not1_saveexec_b32 s0, s0
; %bb.47:                               ;   in Loop: Header=BB0_5 Depth=1
	v_dual_mov_b32 v2, v5 :: v_dual_mov_b32 v3, v6
; %bb.48:                               ;   in Loop: Header=BB0_5 Depth=1
	s_or_b32 exec_lo, exec_lo, s0
.LBB0_49:                               ;   in Loop: Header=BB0_5 Depth=1
	s_delay_alu instid0(SALU_CYCLE_1)
	s_or_b32 exec_lo, exec_lo, s28
.LBB0_50:                               ;   in Loop: Header=BB0_5 Depth=1
	s_and_not1_saveexec_b32 s0, s27
	s_delay_alu instid0(SALU_CYCLE_1)
	s_or_b32 exec_lo, exec_lo, s0
                                        ; implicit-def: $vgpr3
.LBB0_51:                               ;   in Loop: Header=BB0_5 Depth=1
	s_and_not1_saveexec_b32 s0, s26
; %bb.52:                               ;   in Loop: Header=BB0_5 Depth=1
	v_cmp_eq_u64_e32 vcc_lo, 0, v[11:12]
	v_or_b32_e32 v3, 0x7f, v3
	s_delay_alu instid0(VALU_DEP_1)
	v_cndmask_b32_e32 v2, v3, v2, vcc_lo
; %bb.53:                               ;   in Loop: Header=BB0_5 Depth=1
	s_or_b32 exec_lo, exec_lo, s0
	v_mul_f32_e32 v3, 0xbfb8aa3b, v4
	v_cmp_nlt_f32_e32 vcc_lo, 0x42ce8ed0, v4
	s_mov_b32 s0, exec_lo
	s_delay_alu instid0(VALU_DEP_2) | instskip(SKIP_1) | instid1(VALU_DEP_1)
	v_rndne_f32_e32 v5, v3
	v_fma_f32 v6, 0xbfb8aa3b, v4, -v3
	v_dual_sub_f32 v3, v3, v5 :: v_dual_fmac_f32 v6, 0xb2a5705f, v4
	v_cvt_i32_f32_e32 v5, v5
	s_delay_alu instid0(VALU_DEP_2) | instskip(NEXT) | instid1(VALU_DEP_1)
	v_add_f32_e32 v3, v3, v6
	v_exp_f32_e32 v3, v3
	s_waitcnt_depctr 0xfff
	v_ldexp_f32 v3, v3, v5
	s_delay_alu instid0(VALU_DEP_1) | instskip(SKIP_1) | instid1(VALU_DEP_2)
	v_cndmask_b32_e32 v3, 0, v3, vcc_lo
	v_cmp_ngt_f32_e32 vcc_lo, 0xc2b17218, v4
	v_cndmask_b32_e32 v3, 0x7f800000, v3, vcc_lo
	s_delay_alu instid0(VALU_DEP_1) | instskip(NEXT) | instid1(VALU_DEP_1)
	v_add_f32_e32 v3, 1.0, v3
	v_div_scale_f32 v5, null, v3, v3, v4
	s_delay_alu instid0(VALU_DEP_1) | instskip(SKIP_2) | instid1(VALU_DEP_1)
	v_rcp_f32_e32 v6, v5
	s_waitcnt_depctr 0xfff
	v_fma_f32 v7, -v5, v6, 1.0
	v_fmac_f32_e32 v6, v7, v6
	v_div_scale_f32 v7, vcc_lo, v4, v3, v4
	s_delay_alu instid0(VALU_DEP_1) | instskip(NEXT) | instid1(VALU_DEP_1)
	v_mul_f32_e32 v11, v7, v6
	v_fma_f32 v14, -v5, v11, v7
	s_delay_alu instid0(VALU_DEP_1) | instskip(NEXT) | instid1(VALU_DEP_1)
	v_fmac_f32_e32 v11, v14, v6
	v_fma_f32 v5, -v5, v11, v7
	s_delay_alu instid0(VALU_DEP_1) | instskip(NEXT) | instid1(VALU_DEP_1)
	v_div_fmas_f32 v5, v5, v6, v11
	v_div_fixup_f32 v3, v5, v3, v4
	s_delay_alu instid0(VALU_DEP_1) | instskip(NEXT) | instid1(VALU_DEP_1)
	v_mul_f32_e32 v3, v8, v3
	v_dual_mov_b32 v8, v12 :: v_dual_mul_f32 v3, v17, v3
	s_delay_alu instid0(VALU_DEP_1) | instskip(NEXT) | instid1(VALU_DEP_1)
	v_minmax_f32 v6, v3, s25, 0xc3e00000
	v_lshrrev_b32_e32 v5, 24, v6
	v_and_b32_e32 v7, 0x7f800000, v6
	v_and_b32_e32 v11, 0x7fffff, v6
	s_delay_alu instid0(VALU_DEP_3) | instskip(NEXT) | instid1(VALU_DEP_1)
	v_and_b32_e32 v3, 0x80, v5
	v_or_b32_e32 v4, 0x7e, v3
	s_delay_alu instid0(VALU_DEP_4)
	v_cmpx_ne_u64_e32 0x7f800000, v[7:8]
	s_xor_b32 s26, exec_lo, s0
	s_cbranch_execz .LBB0_67
; %bb.54:                               ;   in Loop: Header=BB0_5 Depth=1
	v_dual_mov_b32 v8, v12 :: v_dual_and_b32 v7, 0x7fffffff, v6
	s_mov_b32 s0, exec_lo
	s_delay_alu instid0(VALU_DEP_1)
	v_cmpx_gt_u64_e32 0x43e00001, v[7:8]
	s_xor_b32 s27, exec_lo, s0
	s_cbranch_execz .LBB0_66
; %bb.55:                               ;   in Loop: Header=BB0_5 Depth=1
	s_mov_b32 s28, exec_lo
	v_mov_b32_e32 v4, 0
	v_mov_b32_e32 v5, 0
	v_cmpx_ne_u32_e32 0, v6
	s_cbranch_execz .LBB0_65
; %bb.56:                               ;   in Loop: Header=BB0_5 Depth=1
	v_bfe_u32 v8, v6, 23, 8
	s_delay_alu instid0(VALU_DEP_1) | instskip(SKIP_2) | instid1(VALU_DEP_3)
	v_sub_nc_u32_e64 v4, 0x79, v8 clamp
	v_cmp_eq_u32_e32 vcc_lo, 0, v8
	v_add_nc_u32_e32 v8, 0xffffff88, v8
	v_cndmask_b32_e64 v16, v4, 0x78, vcc_lo
	v_or_b32_e32 v4, 0x800000, v11
	s_delay_alu instid0(VALU_DEP_2) | instskip(NEXT) | instid1(VALU_DEP_2)
	v_add_nc_u32_e32 v5, 20, v16
	v_dual_cndmask_b32 v11, v4, v11 :: v_dual_add_nc_u32 v6, 19, v16
	s_delay_alu instid0(VALU_DEP_2) | instskip(NEXT) | instid1(VALU_DEP_2)
	v_lshlrev_b64 v[4:5], v5, -1
	v_lshrrev_b64 v[14:15], v16, v[11:12]
	s_delay_alu instid0(VALU_DEP_2) | instskip(NEXT) | instid1(VALU_DEP_3)
	v_not_b32_e32 v7, v5
	v_not_b32_e32 v22, v4
	v_lshlrev_b64 v[4:5], v6, 1
	s_delay_alu instid0(VALU_DEP_3) | instskip(NEXT) | instid1(VALU_DEP_3)
	v_and_b32_e32 v7, 0, v7
	v_and_b32_e32 v6, v11, v22
	;; [unrolled: 1-line block ×3, first 2 shown]
	s_delay_alu instid0(VALU_DEP_2) | instskip(NEXT) | instid1(VALU_DEP_2)
	v_cmp_eq_u64_e64 s0, v[6:7], v[4:5]
	v_cmp_eq_u64_e64 s1, 0, v[11:12]
	v_cndmask_b32_e64 v4, v8, 0xffffff89, vcc_lo
	v_lshrrev_b32_e32 v5, 23, v14
                                        ; implicit-def: $vgpr8
	s_delay_alu instid0(VALU_DEP_3) | instskip(NEXT) | instid1(VALU_DEP_1)
	s_and_b32 vcc_lo, s1, s0
	v_add3_u32 v6, v4, v16, v5
	v_subrev_co_ci_u32_e32 v7, vcc_lo, 0, v14, vcc_lo
	s_mov_b32 s0, exec_lo
	s_delay_alu instid0(VALU_DEP_1) | instskip(NEXT) | instid1(VALU_DEP_3)
	v_and_b32_e32 v4, 0xfffff, v7
	v_add_nc_u32_e32 v7, -1, v6
	s_delay_alu instid0(VALU_DEP_2) | instskip(SKIP_1) | instid1(VALU_DEP_3)
	v_add_co_u32 v4, vcc_lo, v4, v14
	v_add_co_ci_u32_e32 v5, vcc_lo, 0, v15, vcc_lo
	v_cmpx_ne_u32_e32 0, v7
	s_xor_b32 s0, exec_lo, s0
; %bb.57:                               ;   in Loop: Header=BB0_5 Depth=1
	s_delay_alu instid0(VALU_DEP_3) | instskip(SKIP_1) | instid1(VALU_DEP_2)
	v_and_b32_e32 v11, 0x1000000, v4
	v_bfe_u32 v8, v4, 24, 1
	v_cmp_eq_u64_e32 vcc_lo, 0, v[11:12]
	s_delay_alu instid0(VALU_DEP_2)
	v_lshrrev_b64 v[4:5], v8, v[4:5]
	v_cndmask_b32_e32 v8, v6, v7, vcc_lo
; %bb.58:                               ;   in Loop: Header=BB0_5 Depth=1
	s_and_not1_saveexec_b32 s0, s0
; %bb.59:                               ;   in Loop: Header=BB0_5 Depth=1
	s_delay_alu instid0(VALU_DEP_2)
	v_bfe_u32 v8, v4, 23, 1
; %bb.60:                               ;   in Loop: Header=BB0_5 Depth=1
	s_or_b32 exec_lo, exec_lo, s0
	s_delay_alu instid0(VALU_DEP_3) | instskip(NEXT) | instid1(VALU_DEP_2)
	v_lshrrev_b64 v[4:5], 20, v[4:5]
	v_cmp_gt_i32_e32 vcc_lo, 16, v8
	v_cmp_ne_u32_e64 s0, 0, v8
	s_delay_alu instid0(VALU_DEP_3) | instskip(NEXT) | instid1(VALU_DEP_1)
	v_dual_cndmask_b32 v7, 0, v5 :: v_dual_cndmask_b32 v6, 7, v4
                                        ; implicit-def: $vgpr4_vgpr5
	v_cmp_ne_u64_e32 vcc_lo, 0, v[6:7]
	s_delay_alu instid0(VALU_DEP_3) | instskip(NEXT) | instid1(SALU_CYCLE_1)
	s_or_b32 s0, s0, vcc_lo
	s_and_saveexec_b32 s1, s0
	s_delay_alu instid0(SALU_CYCLE_1)
	s_xor_b32 s0, exec_lo, s1
; %bb.61:                               ;   in Loop: Header=BB0_5 Depth=1
	v_min_i32_e32 v4, 15, v8
	s_delay_alu instid0(VALU_DEP_1) | instskip(NEXT) | instid1(VALU_DEP_1)
	v_lshl_or_b32 v3, v4, 3, v3
	v_and_or_b32 v4, v6, 7, v3
                                        ; implicit-def: $vgpr3
; %bb.62:                               ;   in Loop: Header=BB0_5 Depth=1
	s_and_not1_saveexec_b32 s0, s0
; %bb.63:                               ;   in Loop: Header=BB0_5 Depth=1
	s_delay_alu instid0(VALU_DEP_1)
	v_mov_b32_e32 v5, v4
	v_mov_b32_e32 v4, v3
; %bb.64:                               ;   in Loop: Header=BB0_5 Depth=1
	s_or_b32 exec_lo, exec_lo, s0
.LBB0_65:                               ;   in Loop: Header=BB0_5 Depth=1
	s_delay_alu instid0(SALU_CYCLE_1)
	s_or_b32 exec_lo, exec_lo, s28
.LBB0_66:                               ;   in Loop: Header=BB0_5 Depth=1
	s_and_not1_saveexec_b32 s0, s27
	s_delay_alu instid0(SALU_CYCLE_1)
	s_or_b32 exec_lo, exec_lo, s0
                                        ; implicit-def: $vgpr5
.LBB0_67:                               ;   in Loop: Header=BB0_5 Depth=1
	s_and_not1_saveexec_b32 s0, s26
	s_cbranch_execz .LBB0_4
; %bb.68:                               ;   in Loop: Header=BB0_5 Depth=1
	v_cmp_eq_u64_e32 vcc_lo, 0, v[11:12]
	v_or_b32_e32 v3, 0x7f, v5
	s_delay_alu instid0(VALU_DEP_1)
	v_cndmask_b32_e32 v4, v3, v4, vcc_lo
	s_branch .LBB0_4
.LBB0_69:
	s_or_b32 exec_lo, exec_lo, s18
	s_sub_i32 s0, 4, s3
	s_delay_alu instid0(SALU_CYCLE_1)
	s_cmp_gt_i32 s2, s0
	s_cbranch_scc0 .LBB0_89
; %bb.70:
	v_add_nc_u32_e32 v0, s0, v0
	s_mov_b32 s0, exec_lo
	s_delay_alu instid0(VALU_DEP_1)
	v_cmpx_gt_i32_e64 s2, v0
	s_cbranch_execz .LBB0_89
; %bb.71:
	s_load_b32 s13, s[8:9], 0xc
	v_dual_mov_b32 v1, 0 :: v_dual_lshlrev_b32 v2, 2, v0
	s_ashr_i32 s3, s2, 31
	s_add_u32 s9, s4, s10
	s_addc_u32 s12, s5, s11
	s_lshl_b64 s[0:1], s[14:15], 3
	v_add_co_u32 v6, s6, s6, v2
	s_or_b32 s0, s0, 4
	s_lshl_b64 s[4:5], s[10:11], 3
	v_add_co_ci_u32_e64 v7, null, s7, 0, s6
	s_mul_i32 s7, s0, s17
	s_mul_hi_u32 s10, s0, s16
	v_dual_mov_b32 v3, v1 :: v_dual_mov_b32 v2, v0
	s_mul_i32 s1, s1, s16
	s_mul_i32 s6, s0, s16
	s_add_i32 s0, s10, s7
	s_waitcnt lgkmcnt(0)
	s_and_b32 s7, s13, 0xffff
	s_mov_b32 s8, 0
	s_add_i32 s10, s0, s1
	s_lshl_b32 s11, s7, 2
	s_mov_b32 s13, 0x43e00000
	s_branch .LBB0_73
.LBB0_72:                               ;   in Loop: Header=BB0_73 Depth=1
	s_or_b32 exec_lo, exec_lo, s0
	v_add_co_u32 v8, vcc_lo, s9, v2
	v_add_co_ci_u32_e32 v9, vcc_lo, s12, v3, vcc_lo
	v_add_co_u32 v2, vcc_lo, v2, s7
	v_add_co_ci_u32_e32 v3, vcc_lo, 0, v3, vcc_lo
	v_add_co_u32 v6, s0, v6, s11
	s_delay_alu instid0(VALU_DEP_1) | instskip(NEXT) | instid1(VALU_DEP_3)
	v_add_co_ci_u32_e64 v7, s0, 0, v7, s0
	v_cmp_le_i64_e32 vcc_lo, s[2:3], v[2:3]
	global_store_b8 v[8:9], v5, off
	s_or_b32 s8, vcc_lo, s8
	s_delay_alu instid0(SALU_CYCLE_1)
	s_and_not1_b32 exec_lo, exec_lo, s8
	s_cbranch_execz .LBB0_89
.LBB0_73:                               ; =>This Inner Loop Header: Depth=1
	v_add_co_u32 v4, vcc_lo, v6, s4
	v_add_co_ci_u32_e32 v5, vcc_lo, s5, v7, vcc_lo
	s_mov_b32 s0, exec_lo
	global_load_b32 v0, v[4:5], off
	v_add_co_u32 v4, vcc_lo, v6, s6
	v_add_co_ci_u32_e32 v5, vcc_lo, s10, v7, vcc_lo
	global_load_b32 v4, v[4:5], off
	s_waitcnt vmcnt(1)
	v_mul_f32_e32 v5, 0xbfb8aa3b, v0
	v_cmp_nlt_f32_e32 vcc_lo, 0x42ce8ed0, v0
	s_delay_alu instid0(VALU_DEP_2) | instskip(SKIP_1) | instid1(VALU_DEP_1)
	v_fma_f32 v8, 0xbfb8aa3b, v0, -v5
	v_rndne_f32_e32 v9, v5
	v_dual_fmac_f32 v8, 0xb2a5705f, v0 :: v_dual_sub_f32 v5, v5, v9
	s_delay_alu instid0(VALU_DEP_1) | instskip(SKIP_1) | instid1(VALU_DEP_2)
	v_add_f32_e32 v5, v5, v8
	v_cvt_i32_f32_e32 v8, v9
	v_exp_f32_e32 v5, v5
	s_waitcnt_depctr 0xfff
	v_ldexp_f32 v5, v5, v8
	s_delay_alu instid0(VALU_DEP_1) | instskip(SKIP_1) | instid1(VALU_DEP_2)
	v_cndmask_b32_e32 v5, 0, v5, vcc_lo
	v_cmp_ngt_f32_e32 vcc_lo, 0xc2b17218, v0
	v_cndmask_b32_e32 v5, 0x7f800000, v5, vcc_lo
	s_delay_alu instid0(VALU_DEP_1) | instskip(NEXT) | instid1(VALU_DEP_1)
	v_add_f32_e32 v5, 1.0, v5
	v_div_scale_f32 v8, null, v5, v5, v0
	s_delay_alu instid0(VALU_DEP_1) | instskip(SKIP_2) | instid1(VALU_DEP_1)
	v_rcp_f32_e32 v9, v8
	s_waitcnt_depctr 0xfff
	v_fma_f32 v10, -v8, v9, 1.0
	v_fmac_f32_e32 v9, v10, v9
	v_div_scale_f32 v10, vcc_lo, v0, v5, v0
	s_delay_alu instid0(VALU_DEP_1) | instskip(NEXT) | instid1(VALU_DEP_1)
	v_mul_f32_e32 v11, v10, v9
	v_fma_f32 v12, -v8, v11, v10
	s_delay_alu instid0(VALU_DEP_1) | instskip(NEXT) | instid1(VALU_DEP_1)
	v_fmac_f32_e32 v11, v12, v9
	v_fma_f32 v8, -v8, v11, v10
	s_delay_alu instid0(VALU_DEP_1) | instskip(SKIP_1) | instid1(VALU_DEP_2)
	v_div_fmas_f32 v8, v8, v9, v11
	v_mov_b32_e32 v11, v1
	v_div_fixup_f32 v0, v8, v5, v0
	s_waitcnt vmcnt(0)
	s_delay_alu instid0(VALU_DEP_1) | instskip(NEXT) | instid1(VALU_DEP_1)
	v_mul_f32_e32 v0, v4, v0
	v_mul_f32_e32 v0, v17, v0
	s_delay_alu instid0(VALU_DEP_1) | instskip(NEXT) | instid1(VALU_DEP_1)
	v_minmax_f32 v4, v0, s13, 0xc3e00000
	v_and_b32_e32 v0, 0x7fffff, v4
	v_lshrrev_b32_e32 v9, 24, v4
	v_and_b32_e32 v10, 0x7f800000, v4
	s_delay_alu instid0(VALU_DEP_2) | instskip(NEXT) | instid1(VALU_DEP_1)
	v_and_b32_e32 v8, 0x80, v9
	v_or_b32_e32 v5, 0x7e, v8
	s_delay_alu instid0(VALU_DEP_3)
	v_cmpx_ne_u64_e32 0x7f800000, v[10:11]
	s_xor_b32 s14, exec_lo, s0
	s_cbranch_execz .LBB0_87
; %bb.74:                               ;   in Loop: Header=BB0_73 Depth=1
	v_dual_mov_b32 v10, v1 :: v_dual_and_b32 v9, 0x7fffffff, v4
	s_mov_b32 s0, exec_lo
	s_delay_alu instid0(VALU_DEP_1)
	v_cmpx_gt_u64_e32 0x43e00001, v[9:10]
	s_xor_b32 s15, exec_lo, s0
	s_cbranch_execz .LBB0_86
; %bb.75:                               ;   in Loop: Header=BB0_73 Depth=1
	v_mov_b32_e32 v5, 0
	s_mov_b32 s16, exec_lo
	v_cmpx_ne_u32_e32 0, v4
	s_cbranch_execz .LBB0_85
; %bb.76:                               ;   in Loop: Header=BB0_73 Depth=1
	v_bfe_u32 v13, v4, 23, 8
	s_delay_alu instid0(VALU_DEP_1) | instskip(SKIP_2) | instid1(VALU_DEP_3)
	v_sub_nc_u32_e64 v4, 0x79, v13 clamp
	v_cmp_eq_u32_e32 vcc_lo, 0, v13
	v_add_nc_u32_e32 v13, 0xffffff88, v13
	v_cndmask_b32_e64 v14, v4, 0x78, vcc_lo
	v_or_b32_e32 v4, 0x800000, v0
	s_delay_alu instid0(VALU_DEP_1) | instskip(SKIP_1) | instid1(VALU_DEP_2)
	v_dual_cndmask_b32 v0, v4, v0 :: v_dual_add_nc_u32 v5, 20, v14
	v_add_nc_u32_e32 v9, 19, v14
	v_lshlrev_b64 v[4:5], v5, -1
	s_delay_alu instid0(VALU_DEP_3) | instskip(NEXT) | instid1(VALU_DEP_2)
	v_lshrrev_b64 v[11:12], v14, v[0:1]
	v_not_b32_e32 v10, v5
	s_delay_alu instid0(VALU_DEP_3) | instskip(SKIP_1) | instid1(VALU_DEP_3)
	v_not_b32_e32 v15, v4
	v_lshlrev_b64 v[4:5], v9, 1
	v_and_b32_e32 v10, 0, v10
	s_delay_alu instid0(VALU_DEP_3) | instskip(SKIP_1) | instid1(VALU_DEP_2)
	v_and_b32_e32 v9, v0, v15
	v_and_b32_e32 v0, 0x100000, v11
	v_cmp_eq_u64_e64 s0, v[9:10], v[4:5]
	s_delay_alu instid0(VALU_DEP_2) | instskip(SKIP_2) | instid1(VALU_DEP_3)
	v_cmp_eq_u64_e64 s1, 0, v[0:1]
	v_cndmask_b32_e64 v0, v13, 0xffffff89, vcc_lo
	v_lshrrev_b32_e32 v4, 23, v11
	s_and_b32 vcc_lo, s1, s0
	s_delay_alu instid0(VALU_DEP_1) | instskip(SKIP_2) | instid1(VALU_DEP_2)
	v_add3_u32 v9, v0, v14, v4
	v_subrev_co_ci_u32_e32 v5, vcc_lo, 0, v11, vcc_lo
	s_mov_b32 s0, exec_lo
	v_add_nc_u32_e32 v10, -1, v9
	s_delay_alu instid0(VALU_DEP_2) | instskip(NEXT) | instid1(VALU_DEP_1)
	v_and_b32_e32 v0, 0xfffff, v5
	v_add_co_u32 v4, vcc_lo, v0, v11
	v_add_co_ci_u32_e32 v5, vcc_lo, 0, v12, vcc_lo
                                        ; implicit-def: $vgpr0
	s_delay_alu instid0(VALU_DEP_4)
	v_cmpx_ne_u32_e32 0, v10
	s_xor_b32 s0, exec_lo, s0
; %bb.77:                               ;   in Loop: Header=BB0_73 Depth=1
	s_delay_alu instid0(VALU_DEP_3) | instskip(SKIP_1) | instid1(VALU_DEP_2)
	v_and_b32_e32 v0, 0x1000000, v4
	v_bfe_u32 v11, v4, 24, 1
	v_cmp_eq_u64_e32 vcc_lo, 0, v[0:1]
	s_delay_alu instid0(VALU_DEP_2)
	v_lshrrev_b64 v[4:5], v11, v[4:5]
	v_cndmask_b32_e32 v0, v9, v10, vcc_lo
; %bb.78:                               ;   in Loop: Header=BB0_73 Depth=1
	s_and_not1_saveexec_b32 s0, s0
; %bb.79:                               ;   in Loop: Header=BB0_73 Depth=1
	s_delay_alu instid0(VALU_DEP_2)
	v_bfe_u32 v0, v4, 23, 1
; %bb.80:                               ;   in Loop: Header=BB0_73 Depth=1
	s_or_b32 exec_lo, exec_lo, s0
	s_delay_alu instid0(VALU_DEP_3) | instskip(NEXT) | instid1(VALU_DEP_2)
	v_lshrrev_b64 v[4:5], 20, v[4:5]
	v_cmp_gt_i32_e32 vcc_lo, 16, v0
	v_cmp_ne_u32_e64 s0, 0, v0
	s_delay_alu instid0(VALU_DEP_3) | instskip(NEXT) | instid1(VALU_DEP_1)
	v_dual_cndmask_b32 v5, 0, v5 :: v_dual_cndmask_b32 v4, 7, v4
	v_cmp_ne_u64_e32 vcc_lo, 0, v[4:5]
                                        ; implicit-def: $vgpr5
	s_delay_alu instid0(VALU_DEP_3) | instskip(NEXT) | instid1(SALU_CYCLE_1)
	s_or_b32 s0, s0, vcc_lo
	s_and_saveexec_b32 s1, s0
	s_delay_alu instid0(SALU_CYCLE_1)
	s_xor_b32 s0, exec_lo, s1
; %bb.81:                               ;   in Loop: Header=BB0_73 Depth=1
	v_min_i32_e32 v0, 15, v0
	s_delay_alu instid0(VALU_DEP_1) | instskip(NEXT) | instid1(VALU_DEP_1)
	v_lshl_or_b32 v0, v0, 3, v8
                                        ; implicit-def: $vgpr8
	v_and_or_b32 v5, v4, 7, v0
; %bb.82:                               ;   in Loop: Header=BB0_73 Depth=1
	s_and_not1_saveexec_b32 s0, s0
; %bb.83:                               ;   in Loop: Header=BB0_73 Depth=1
	v_mov_b32_e32 v5, v8
; %bb.84:                               ;   in Loop: Header=BB0_73 Depth=1
	s_or_b32 exec_lo, exec_lo, s0
.LBB0_85:                               ;   in Loop: Header=BB0_73 Depth=1
	s_delay_alu instid0(SALU_CYCLE_1)
	s_or_b32 exec_lo, exec_lo, s16
.LBB0_86:                               ;   in Loop: Header=BB0_73 Depth=1
	s_and_not1_saveexec_b32 s0, s15
	s_delay_alu instid0(SALU_CYCLE_1)
	s_or_b32 exec_lo, exec_lo, s0
                                        ; implicit-def: $vgpr9
.LBB0_87:                               ;   in Loop: Header=BB0_73 Depth=1
	s_and_not1_saveexec_b32 s0, s14
	s_cbranch_execz .LBB0_72
; %bb.88:                               ;   in Loop: Header=BB0_73 Depth=1
	v_cmp_eq_u64_e32 vcc_lo, 0, v[0:1]
	v_or_b32_e32 v4, 0x7f, v9
	s_delay_alu instid0(VALU_DEP_1)
	v_cndmask_b32_e32 v5, v4, v5, vcc_lo
	s_branch .LBB0_72
.LBB0_89:
	s_nop 0
	s_sendmsg sendmsg(MSG_DEALLOC_VGPRS)
	s_endpgm
	.section	.rodata,"a",@progbits
	.p2align	6, 0x0
	.amdhsa_kernel _ZN4vllm24act_and_mul_quant_kernelIfTnPFT_RKS1_EXadL_ZNS_11silu_kernelIfEES1_S3_EEN3c1013Float8_e4m3fnEEEvPT1_PS2_PKfi
		.amdhsa_group_segment_fixed_size 0
		.amdhsa_private_segment_fixed_size 0
		.amdhsa_kernarg_size 288
		.amdhsa_user_sgpr_count 14
		.amdhsa_user_sgpr_dispatch_ptr 0
		.amdhsa_user_sgpr_queue_ptr 0
		.amdhsa_user_sgpr_kernarg_segment_ptr 1
		.amdhsa_user_sgpr_dispatch_id 0
		.amdhsa_user_sgpr_private_segment_size 0
		.amdhsa_wavefront_size32 1
		.amdhsa_uses_dynamic_stack 0
		.amdhsa_enable_private_segment 0
		.amdhsa_system_sgpr_workgroup_id_x 1
		.amdhsa_system_sgpr_workgroup_id_y 1
		.amdhsa_system_sgpr_workgroup_id_z 0
		.amdhsa_system_sgpr_workgroup_info 0
		.amdhsa_system_vgpr_workitem_id 0
		.amdhsa_next_free_vgpr 26
		.amdhsa_next_free_sgpr 29
		.amdhsa_reserve_vcc 1
		.amdhsa_float_round_mode_32 0
		.amdhsa_float_round_mode_16_64 0
		.amdhsa_float_denorm_mode_32 3
		.amdhsa_float_denorm_mode_16_64 3
		.amdhsa_dx10_clamp 1
		.amdhsa_ieee_mode 1
		.amdhsa_fp16_overflow 0
		.amdhsa_workgroup_processor_mode 1
		.amdhsa_memory_ordered 1
		.amdhsa_forward_progress 0
		.amdhsa_shared_vgpr_count 0
		.amdhsa_exception_fp_ieee_invalid_op 0
		.amdhsa_exception_fp_denorm_src 0
		.amdhsa_exception_fp_ieee_div_zero 0
		.amdhsa_exception_fp_ieee_overflow 0
		.amdhsa_exception_fp_ieee_underflow 0
		.amdhsa_exception_fp_ieee_inexact 0
		.amdhsa_exception_int_div_zero 0
	.end_amdhsa_kernel
	.section	.text._ZN4vllm24act_and_mul_quant_kernelIfTnPFT_RKS1_EXadL_ZNS_11silu_kernelIfEES1_S3_EEN3c1013Float8_e4m3fnEEEvPT1_PS2_PKfi,"axG",@progbits,_ZN4vllm24act_and_mul_quant_kernelIfTnPFT_RKS1_EXadL_ZNS_11silu_kernelIfEES1_S3_EEN3c1013Float8_e4m3fnEEEvPT1_PS2_PKfi,comdat
.Lfunc_end0:
	.size	_ZN4vllm24act_and_mul_quant_kernelIfTnPFT_RKS1_EXadL_ZNS_11silu_kernelIfEES1_S3_EEN3c1013Float8_e4m3fnEEEvPT1_PS2_PKfi, .Lfunc_end0-_ZN4vllm24act_and_mul_quant_kernelIfTnPFT_RKS1_EXadL_ZNS_11silu_kernelIfEES1_S3_EEN3c1013Float8_e4m3fnEEEvPT1_PS2_PKfi
                                        ; -- End function
	.section	.AMDGPU.csdata,"",@progbits
; Kernel info:
; codeLenInByte = 5124
; NumSgprs: 31
; NumVgprs: 26
; ScratchSize: 0
; MemoryBound: 0
; FloatMode: 240
; IeeeMode: 1
; LDSByteSize: 0 bytes/workgroup (compile time only)
; SGPRBlocks: 3
; VGPRBlocks: 3
; NumSGPRsForWavesPerEU: 31
; NumVGPRsForWavesPerEU: 26
; Occupancy: 16
; WaveLimiterHint : 0
; COMPUTE_PGM_RSRC2:SCRATCH_EN: 0
; COMPUTE_PGM_RSRC2:USER_SGPR: 14
; COMPUTE_PGM_RSRC2:TRAP_HANDLER: 0
; COMPUTE_PGM_RSRC2:TGID_X_EN: 1
; COMPUTE_PGM_RSRC2:TGID_Y_EN: 1
; COMPUTE_PGM_RSRC2:TGID_Z_EN: 0
; COMPUTE_PGM_RSRC2:TIDIG_COMP_CNT: 0
	.section	.text._ZN4vllm24act_and_mul_quant_kernelIfTnPFT_RKS1_EXadL_ZNS_11silu_kernelIfEES1_S3_EEN3c1015Float8_e4m3fnuzEEEvPT1_PS2_PKfi,"axG",@progbits,_ZN4vllm24act_and_mul_quant_kernelIfTnPFT_RKS1_EXadL_ZNS_11silu_kernelIfEES1_S3_EEN3c1015Float8_e4m3fnuzEEEvPT1_PS2_PKfi,comdat
	.protected	_ZN4vllm24act_and_mul_quant_kernelIfTnPFT_RKS1_EXadL_ZNS_11silu_kernelIfEES1_S3_EEN3c1015Float8_e4m3fnuzEEEvPT1_PS2_PKfi ; -- Begin function _ZN4vllm24act_and_mul_quant_kernelIfTnPFT_RKS1_EXadL_ZNS_11silu_kernelIfEES1_S3_EEN3c1015Float8_e4m3fnuzEEEvPT1_PS2_PKfi
	.globl	_ZN4vllm24act_and_mul_quant_kernelIfTnPFT_RKS1_EXadL_ZNS_11silu_kernelIfEES1_S3_EEN3c1015Float8_e4m3fnuzEEEvPT1_PS2_PKfi
	.p2align	8
	.type	_ZN4vllm24act_and_mul_quant_kernelIfTnPFT_RKS1_EXadL_ZNS_11silu_kernelIfEES1_S3_EEN3c1015Float8_e4m3fnuzEEEvPT1_PS2_PKfi,@function
_ZN4vllm24act_and_mul_quant_kernelIfTnPFT_RKS1_EXadL_ZNS_11silu_kernelIfEES1_S3_EEN3c1015Float8_e4m3fnuzEEEvPT1_PS2_PKfi: ; @_ZN4vllm24act_and_mul_quant_kernelIfTnPFT_RKS1_EXadL_ZNS_11silu_kernelIfEES1_S3_EEN3c1015Float8_e4m3fnuzEEEvPT1_PS2_PKfi
; %bb.0:
	s_clause 0x1
	s_load_b32 s3, s[0:1], 0x24
	s_load_b32 s16, s[0:1], 0x18
	s_add_u32 s8, s0, 32
	s_addc_u32 s9, s1, 0
	s_mov_b32 s2, s15
	s_waitcnt lgkmcnt(0)
	s_abs_i32 s10, s3
	s_add_i32 s6, s16, s3
	v_cvt_f32_u32_e32 v1, s10
	s_sub_i32 s5, 0, s10
	s_add_i32 s11, s6, -1
	s_delay_alu instid0(SALU_CYCLE_1) | instskip(NEXT) | instid1(VALU_DEP_1)
	s_abs_i32 s12, s11
	v_rcp_iflag_f32_e32 v1, v1
	s_xor_b32 s3, s11, s3
	s_delay_alu instid0(SALU_CYCLE_1) | instskip(SKIP_2) | instid1(VALU_DEP_1)
	s_ashr_i32 s3, s3, 31
	s_waitcnt_depctr 0xfff
	v_mul_f32_e32 v1, 0x4f7ffffe, v1
	v_cvt_u32_f32_e32 v1, v1
	s_delay_alu instid0(VALU_DEP_1) | instskip(NEXT) | instid1(VALU_DEP_1)
	v_readfirstlane_b32 s4, v1
	s_mul_i32 s5, s5, s4
	s_delay_alu instid0(SALU_CYCLE_1) | instskip(NEXT) | instid1(SALU_CYCLE_1)
	s_mul_hi_u32 s5, s4, s5
	s_add_i32 s13, s4, s5
	s_load_b128 s[4:7], s[0:1], 0x0
	s_mul_hi_u32 s13, s12, s13
	s_delay_alu instid0(SALU_CYCLE_1) | instskip(NEXT) | instid1(SALU_CYCLE_1)
	s_mul_i32 s11, s13, s10
	s_sub_i32 s11, s12, s11
	s_add_i32 s12, s13, 1
	s_sub_i32 s15, s11, s10
	s_cmp_ge_u32 s11, s10
	s_cselect_b32 s12, s12, s13
	s_cselect_b32 s11, s15, s11
	s_add_i32 s13, s12, 1
	s_cmp_ge_u32 s11, s10
	s_mov_b32 s15, 0
	s_cselect_b32 s10, s13, s12
	s_delay_alu instid0(SALU_CYCLE_1) | instskip(NEXT) | instid1(SALU_CYCLE_1)
	s_xor_b32 s10, s10, s3
	s_sub_i32 s3, s10, s3
	s_delay_alu instid0(SALU_CYCLE_1) | instskip(NEXT) | instid1(SALU_CYCLE_1)
	s_and_b32 s10, s3, 3
	s_cmp_eq_u32 s10, 0
	s_cbranch_scc1 .LBB1_2
; %bb.1:
	s_ashr_i32 s10, s3, 31
	s_delay_alu instid0(SALU_CYCLE_1) | instskip(NEXT) | instid1(SALU_CYCLE_1)
	s_lshr_b32 s10, s10, 30
	s_add_i32 s3, s3, s10
	s_delay_alu instid0(SALU_CYCLE_1) | instskip(NEXT) | instid1(SALU_CYCLE_1)
	s_and_b32 s3, s3, -4
	s_add_i32 s3, s3, 4
.LBB1_2:
	s_load_b64 s[0:1], s[0:1], 0x10
	s_mul_i32 s10, s3, s2
	s_ashr_i32 s17, s16, 31
	s_add_i32 s2, s10, s3
	s_mul_hi_u32 s12, s16, s14
	s_min_i32 s2, s2, s16
	s_mul_i32 s13, s17, s14
	s_abs_i32 s3, s2
	s_mov_b32 s18, exec_lo
	v_cvt_f32_u32_e32 v1, s3
	s_sub_i32 s11, 0, s3
	s_delay_alu instid0(VALU_DEP_1) | instskip(SKIP_4) | instid1(VALU_DEP_1)
	v_rcp_iflag_f32_e32 v1, v1
	s_waitcnt lgkmcnt(0)
	s_load_b32 s1, s[0:1], 0x0
	s_waitcnt_depctr 0xfff
	v_mul_f32_e32 v1, 0x4f7ffffe, v1
	v_cvt_u32_f32_e32 v1, v1
	s_delay_alu instid0(VALU_DEP_1) | instskip(NEXT) | instid1(VALU_DEP_1)
	v_readfirstlane_b32 s0, v1
	s_mul_i32 s11, s11, s0
	s_waitcnt lgkmcnt(0)
	v_div_scale_f32 v2, null, s1, s1, 1.0
	s_mul_hi_u32 s11, s0, s11
	v_div_scale_f32 v4, vcc_lo, 1.0, s1, 1.0
	s_delay_alu instid0(VALU_DEP_2) | instskip(SKIP_3) | instid1(SALU_CYCLE_1)
	v_rcp_f32_e32 v1, v2
	s_add_i32 s0, s0, s11
	s_add_i32 s11, s12, s13
	s_lshr_b32 s0, s0, 30
	s_mul_i32 s0, s0, s3
	s_delay_alu instid0(SALU_CYCLE_1) | instskip(NEXT) | instid1(SALU_CYCLE_1)
	s_sub_i32 s0, 4, s0
	s_sub_i32 s12, s0, s3
	s_waitcnt_depctr 0xfff
	v_fma_f32 v3, -v2, v1, 1.0
	s_cmp_ge_u32 s0, s3
	s_cselect_b32 s0, s12, s0
	s_delay_alu instid0(SALU_CYCLE_1) | instskip(NEXT) | instid1(VALU_DEP_1)
	s_sub_i32 s12, s0, s3
	v_fmac_f32_e32 v1, v3, v1
	s_cmp_ge_u32 s0, s3
	s_cselect_b32 s3, s12, s0
	s_delay_alu instid0(VALU_DEP_1) | instskip(SKIP_3) | instid1(VALU_DEP_1)
	v_mul_f32_e32 v3, v4, v1
	s_cmp_eq_u32 s3, 0
	s_cselect_b32 s0, -1, 0
	s_ashr_i32 s12, s10, 31
	v_fma_f32 v5, -v2, v3, v4
	s_lshr_b32 s12, s12, 30
	v_cndmask_b32_e64 v16, 0, 1, s0
	s_add_i32 s10, s10, s12
	s_delay_alu instid0(VALU_DEP_2) | instskip(SKIP_3) | instid1(VALU_DEP_2)
	v_fmac_f32_e32 v3, v5, v1
	s_ashr_i32 s0, s10, 2
	s_mul_i32 s10, s16, s14
	v_add_nc_u32_e32 v17, s0, v0
	v_fma_f32 v2, -v2, v3, v4
	s_delay_alu instid0(VALU_DEP_1) | instskip(NEXT) | instid1(VALU_DEP_1)
	v_div_fmas_f32 v1, v2, v1, v3
	v_div_fixup_f32 v15, v1, s1, 1.0
	s_delay_alu instid0(VALU_DEP_4)
	v_cmpx_lt_i32_e64 v17, v16
	s_cbranch_execz .LBB1_45
; %bb.3:
	s_load_b32 s1, s[8:9], 0xc
	s_ashr_i32 s22, s0, 31
	v_add_co_u32 v1, s0, s0, v0
	s_delay_alu instid0(VALU_DEP_1)
	v_add_co_ci_u32_e64 v2, null, s22, 0, s0
	s_lshl_b64 s[20:21], s[14:15], 3
	s_lshl_b64 s[12:13], s[10:11], 3
	s_or_b32 s0, s20, 4
	s_mul_i32 s20, s21, s16
	s_mul_i32 s21, s0, s17
	s_mul_hi_u32 s22, s0, s16
	v_lshlrev_b64 v[3:4], 4, v[1:2]
	s_add_i32 s21, s22, s21
	v_lshlrev_b64 v[1:2], 3, v[1:2]
	s_add_i32 s20, s21, s20
	v_mov_b32_e32 v12, 0
	s_mov_b32 s19, 0
	v_add_co_u32 v18, vcc_lo, s6, v3
	s_waitcnt lgkmcnt(0)
	s_and_b32 s21, s1, 0xffff
	v_add_co_ci_u32_e32 v19, vcc_lo, s7, v4, vcc_lo
	s_lshl_b32 s22, s21, 4
	s_add_u32 s1, s4, s10
	s_addc_u32 s23, s5, s11
	v_add_co_u32 v9, vcc_lo, s1, v1
	v_add_co_ci_u32_e32 v10, vcc_lo, s23, v2, vcc_lo
	s_mul_i32 s23, s0, s16
	s_lshl_b32 s24, s21, 3
	s_mov_b32 s25, 0x43600000
	s_branch .LBB1_8
.LBB1_4:                                ;   in Loop: Header=BB1_8 Depth=1
	s_or_b32 exec_lo, exec_lo, s0
	s_delay_alu instid0(VALU_DEP_2) | instskip(NEXT) | instid1(VALU_DEP_2)
	v_lshrrev_b64 v[3:4], 20, v[3:4]
	v_cmp_gt_i32_e32 vcc_lo, 16, v6
	v_and_b32_e32 v5, 0x80, v5
	v_min_i32_e32 v7, 15, v6
	v_cmp_eq_u32_e64 s0, 0, v6
	v_dual_cndmask_b32 v4, 0, v4 :: v_dual_cndmask_b32 v3, 7, v3
	s_delay_alu instid0(VALU_DEP_3) | instskip(NEXT) | instid1(VALU_DEP_2)
	v_lshl_or_b32 v5, v7, 3, v5
	v_cmp_eq_u64_e32 vcc_lo, 0, v[3:4]
	s_delay_alu instid0(VALU_DEP_2)
	v_and_or_b32 v3, v3, 7, v5
	s_and_b32 s0, s0, vcc_lo
	s_delay_alu instid0(VALU_DEP_1) | instid1(SALU_CYCLE_1)
	v_cndmask_b32_e64 v3, v3, 0, s0
.LBB1_5:                                ;   in Loop: Header=BB1_8 Depth=1
	s_or_b32 exec_lo, exec_lo, s28
.LBB1_6:                                ;   in Loop: Header=BB1_8 Depth=1
	s_and_not1_saveexec_b32 s0, s27
	s_delay_alu instid0(SALU_CYCLE_1)
	s_or_b32 exec_lo, exec_lo, s0
.LBB1_7:                                ;   in Loop: Header=BB1_8 Depth=1
	s_and_not1_saveexec_b32 s0, s26
	s_delay_alu instid0(SALU_CYCLE_1) | instskip(SKIP_4) | instid1(VALU_DEP_4)
	s_or_b32 exec_lo, exec_lo, s0
	v_lshlrev_b32_e32 v2, 16, v2
	v_lshlrev_b32_e32 v1, 8, v1
	v_add_nc_u32_e32 v17, s21, v17
	v_add_co_u32 v18, vcc_lo, v18, s22
	v_perm_b32 v2, v3, v2, 0x4020c0c
	v_add_co_ci_u32_e32 v19, vcc_lo, 0, v19, vcc_lo
	s_delay_alu instid0(VALU_DEP_4) | instskip(NEXT) | instid1(VALU_DEP_3)
	v_cmp_ge_i32_e32 vcc_lo, v17, v16
	v_and_or_b32 v1, 0xff00, v1, v2
	s_or_b32 s19, vcc_lo, s19
	s_delay_alu instid0(VALU_DEP_1) | instskip(SKIP_2) | instid1(VALU_DEP_1)
	v_and_or_b32 v11, 0xff, v13, v1
	global_store_b64 v[9:10], v[11:12], off
	v_add_co_u32 v9, s0, v9, s24
	v_add_co_ci_u32_e64 v10, s0, 0, v10, s0
	s_and_not1_b32 exec_lo, exec_lo, s19
	s_cbranch_execz .LBB1_45
.LBB1_8:                                ; =>This Inner Loop Header: Depth=1
	v_add_co_u32 v1, vcc_lo, v18, s12
	v_add_co_ci_u32_e32 v2, vcc_lo, s13, v19, vcc_lo
	v_add_co_u32 v5, vcc_lo, v18, s23
	v_add_co_ci_u32_e32 v6, vcc_lo, s20, v19, vcc_lo
	global_load_b128 v[1:4], v[1:2], off
	s_mov_b32 s0, exec_lo
	global_load_b128 v[5:8], v[5:6], off
	s_waitcnt vmcnt(1)
	v_mul_f32_e32 v11, 0xbfb8aa3b, v1
	v_cmp_nlt_f32_e32 vcc_lo, 0x42ce8ed0, v1
	s_delay_alu instid0(VALU_DEP_2) | instskip(SKIP_1) | instid1(VALU_DEP_2)
	v_fma_f32 v13, 0xbfb8aa3b, v1, -v11
	v_rndne_f32_e32 v14, v11
	v_fmac_f32_e32 v13, 0xb2a5705f, v1
	s_delay_alu instid0(VALU_DEP_2) | instskip(NEXT) | instid1(VALU_DEP_1)
	v_sub_f32_e32 v11, v11, v14
	v_add_f32_e32 v11, v11, v13
	v_cvt_i32_f32_e32 v13, v14
	s_delay_alu instid0(VALU_DEP_2) | instskip(SKIP_2) | instid1(VALU_DEP_1)
	v_exp_f32_e32 v11, v11
	s_waitcnt_depctr 0xfff
	v_ldexp_f32 v11, v11, v13
	v_cndmask_b32_e32 v11, 0, v11, vcc_lo
	v_cmp_ngt_f32_e32 vcc_lo, 0xc2b17218, v1
	s_delay_alu instid0(VALU_DEP_2) | instskip(NEXT) | instid1(VALU_DEP_1)
	v_cndmask_b32_e32 v11, 0x7f800000, v11, vcc_lo
	v_add_f32_e32 v11, 1.0, v11
	s_delay_alu instid0(VALU_DEP_1) | instskip(NEXT) | instid1(VALU_DEP_1)
	v_div_scale_f32 v13, null, v11, v11, v1
	v_rcp_f32_e32 v14, v13
	s_waitcnt_depctr 0xfff
	v_fma_f32 v20, -v13, v14, 1.0
	s_delay_alu instid0(VALU_DEP_1) | instskip(SKIP_1) | instid1(VALU_DEP_1)
	v_fmac_f32_e32 v14, v20, v14
	v_div_scale_f32 v20, vcc_lo, v1, v11, v1
	v_mul_f32_e32 v21, v20, v14
	s_delay_alu instid0(VALU_DEP_1) | instskip(NEXT) | instid1(VALU_DEP_1)
	v_fma_f32 v22, -v13, v21, v20
	v_fmac_f32_e32 v21, v22, v14
	s_delay_alu instid0(VALU_DEP_1) | instskip(NEXT) | instid1(VALU_DEP_1)
	v_fma_f32 v13, -v13, v21, v20
	v_div_fmas_f32 v13, v13, v14, v21
	s_delay_alu instid0(VALU_DEP_1) | instskip(SKIP_1) | instid1(VALU_DEP_1)
	v_div_fixup_f32 v1, v13, v11, v1
	s_waitcnt vmcnt(0)
	v_mul_f32_e32 v1, v5, v1
	s_delay_alu instid0(VALU_DEP_1) | instskip(NEXT) | instid1(VALU_DEP_1)
	v_mul_f32_e32 v1, v15, v1
	v_minmax_f32 v5, v1, s25, 0xc3600000
	s_delay_alu instid0(VALU_DEP_1) | instskip(SKIP_1) | instid1(VALU_DEP_2)
	v_lshrrev_b32_e32 v1, 24, v5
	v_and_b32_e32 v11, 0x7f800000, v5
	v_or_b32_e32 v13, 0x7f, v1
	s_delay_alu instid0(VALU_DEP_2)
	v_cmpx_ne_u64_e32 0x7f800000, v[11:12]
	s_xor_b32 s26, exec_lo, s0
	s_cbranch_execz .LBB1_18
; %bb.9:                                ;   in Loop: Header=BB1_8 Depth=1
	v_and_b32_e32 v11, 0x7fffffff, v5
	s_mov_b32 s0, exec_lo
	s_delay_alu instid0(VALU_DEP_1)
	v_cmpx_gt_u64_e32 0x43700001, v[11:12]
	s_xor_b32 s27, exec_lo, s0
	s_cbranch_execz .LBB1_17
; %bb.10:                               ;   in Loop: Header=BB1_8 Depth=1
	s_mov_b32 s28, exec_lo
	v_mov_b32_e32 v13, 0
	v_mov_b32_e32 v14, 0
	v_cmpx_ne_u32_e32 0, v5
	s_cbranch_execz .LBB1_16
; %bb.11:                               ;   in Loop: Header=BB1_8 Depth=1
	v_bfe_u32 v24, v5, 23, 8
	v_and_b32_e32 v5, 0x7fffff, v5
	s_delay_alu instid0(VALU_DEP_2) | instskip(SKIP_1) | instid1(VALU_DEP_2)
	v_sub_nc_u32_e64 v11, 0x78, v24 clamp
	v_cmp_eq_u32_e32 vcc_lo, 0, v24
	v_cndmask_b32_e64 v25, v11, 0x77, vcc_lo
	s_delay_alu instid0(VALU_DEP_1) | instskip(NEXT) | instid1(VALU_DEP_1)
	v_add_nc_u32_e32 v13, 20, v25
	v_lshlrev_b64 v[13:14], v13, -1
	v_mov_b32_e32 v14, v12
	v_or_b32_e32 v11, 0x800000, v5
	s_delay_alu instid0(VALU_DEP_3) | instskip(NEXT) | instid1(VALU_DEP_2)
	v_not_b32_e32 v13, v13
	v_cndmask_b32_e32 v11, v11, v5, vcc_lo
	v_add_nc_u32_e32 v5, 19, v25
	s_delay_alu instid0(VALU_DEP_2) | instskip(NEXT) | instid1(VALU_DEP_2)
	v_lshrrev_b64 v[22:23], v25, v[11:12]
	v_lshlrev_b64 v[20:21], v5, 1
	v_and_b32_e32 v13, v11, v13
	v_add_nc_u32_e32 v5, 0xffffff89, v24
	s_delay_alu instid0(VALU_DEP_4) | instskip(NEXT) | instid1(VALU_DEP_3)
	v_and_b32_e32 v11, 0x100000, v22
	v_cmp_eq_u64_e64 s0, v[13:14], v[20:21]
	s_delay_alu instid0(VALU_DEP_3) | instskip(NEXT) | instid1(VALU_DEP_3)
	v_cndmask_b32_e64 v5, v5, 0xffffff8a, vcc_lo
	v_cmp_eq_u64_e64 s1, 0, v[11:12]
	v_lshrrev_b32_e32 v11, 23, v22
	s_delay_alu instid0(VALU_DEP_1) | instskip(NEXT) | instid1(VALU_DEP_3)
	v_add3_u32 v20, v5, v25, v11
	s_and_b32 vcc_lo, s1, s0
	s_mov_b32 s0, exec_lo
	v_subrev_co_ci_u32_e32 v13, vcc_lo, 0, v22, vcc_lo
	s_delay_alu instid0(VALU_DEP_2) | instskip(NEXT) | instid1(VALU_DEP_2)
	v_add_nc_u32_e32 v21, -1, v20
	v_and_b32_e32 v5, 0xfffff, v13
	s_delay_alu instid0(VALU_DEP_1) | instskip(SKIP_1) | instid1(VALU_DEP_4)
	v_add_co_u32 v13, vcc_lo, v5, v22
	v_add_co_ci_u32_e32 v14, vcc_lo, 0, v23, vcc_lo
                                        ; implicit-def: $vgpr5
	v_cmpx_ne_u32_e32 0, v21
	s_xor_b32 s0, exec_lo, s0
; %bb.12:                               ;   in Loop: Header=BB1_8 Depth=1
	s_delay_alu instid0(VALU_DEP_3) | instskip(SKIP_1) | instid1(VALU_DEP_2)
	v_and_b32_e32 v11, 0x1000000, v13
	v_bfe_u32 v5, v13, 24, 1
	v_cmp_eq_u64_e32 vcc_lo, 0, v[11:12]
	s_delay_alu instid0(VALU_DEP_2)
	v_lshrrev_b64 v[13:14], v5, v[13:14]
	v_cndmask_b32_e32 v5, v20, v21, vcc_lo
; %bb.13:                               ;   in Loop: Header=BB1_8 Depth=1
	s_and_not1_saveexec_b32 s0, s0
; %bb.14:                               ;   in Loop: Header=BB1_8 Depth=1
	s_delay_alu instid0(VALU_DEP_2)
	v_bfe_u32 v5, v13, 23, 1
; %bb.15:                               ;   in Loop: Header=BB1_8 Depth=1
	s_or_b32 exec_lo, exec_lo, s0
	s_delay_alu instid0(VALU_DEP_3) | instskip(NEXT) | instid1(VALU_DEP_2)
	v_lshrrev_b64 v[13:14], 20, v[13:14]
	v_cmp_gt_i32_e32 vcc_lo, 16, v5
	v_and_b32_e32 v1, 0x80, v1
	v_min_i32_e32 v11, 15, v5
	v_cmp_eq_u32_e64 s0, 0, v5
	v_dual_cndmask_b32 v14, 0, v14 :: v_dual_cndmask_b32 v13, 7, v13
	s_delay_alu instid0(VALU_DEP_3) | instskip(NEXT) | instid1(VALU_DEP_2)
	v_lshl_or_b32 v1, v11, 3, v1
	v_cmp_eq_u64_e32 vcc_lo, 0, v[13:14]
	s_delay_alu instid0(VALU_DEP_2)
	v_and_or_b32 v1, v13, 7, v1
	s_and_b32 s0, s0, vcc_lo
	s_delay_alu instid0(VALU_DEP_1) | instid1(SALU_CYCLE_1)
	v_cndmask_b32_e64 v13, v1, 0, s0
.LBB1_16:                               ;   in Loop: Header=BB1_8 Depth=1
	s_or_b32 exec_lo, exec_lo, s28
.LBB1_17:                               ;   in Loop: Header=BB1_8 Depth=1
	s_and_not1_saveexec_b32 s0, s27
	s_delay_alu instid0(SALU_CYCLE_1)
	s_or_b32 exec_lo, exec_lo, s0
.LBB1_18:                               ;   in Loop: Header=BB1_8 Depth=1
	s_and_not1_saveexec_b32 s0, s26
	s_delay_alu instid0(SALU_CYCLE_1) | instskip(SKIP_3) | instid1(VALU_DEP_2)
	s_or_b32 exec_lo, exec_lo, s0
	v_mul_f32_e32 v1, 0xbfb8aa3b, v2
	v_cmp_nlt_f32_e32 vcc_lo, 0x42ce8ed0, v2
	s_mov_b32 s0, exec_lo
	v_rndne_f32_e32 v5, v1
	v_fma_f32 v11, 0xbfb8aa3b, v2, -v1
	s_delay_alu instid0(VALU_DEP_2) | instskip(NEXT) | instid1(VALU_DEP_2)
	v_sub_f32_e32 v1, v1, v5
	v_fmac_f32_e32 v11, 0xb2a5705f, v2
	v_cvt_i32_f32_e32 v5, v5
	s_delay_alu instid0(VALU_DEP_2) | instskip(NEXT) | instid1(VALU_DEP_1)
	v_add_f32_e32 v1, v1, v11
	v_exp_f32_e32 v1, v1
	s_waitcnt_depctr 0xfff
	v_ldexp_f32 v1, v1, v5
	s_delay_alu instid0(VALU_DEP_1) | instskip(SKIP_1) | instid1(VALU_DEP_2)
	v_cndmask_b32_e32 v1, 0, v1, vcc_lo
	v_cmp_ngt_f32_e32 vcc_lo, 0xc2b17218, v2
	v_cndmask_b32_e32 v1, 0x7f800000, v1, vcc_lo
	s_delay_alu instid0(VALU_DEP_1) | instskip(NEXT) | instid1(VALU_DEP_1)
	v_add_f32_e32 v1, 1.0, v1
	v_div_scale_f32 v5, null, v1, v1, v2
	s_delay_alu instid0(VALU_DEP_1) | instskip(SKIP_2) | instid1(VALU_DEP_1)
	v_rcp_f32_e32 v11, v5
	s_waitcnt_depctr 0xfff
	v_fma_f32 v14, -v5, v11, 1.0
	v_fmac_f32_e32 v11, v14, v11
	v_div_scale_f32 v14, vcc_lo, v2, v1, v2
	s_delay_alu instid0(VALU_DEP_1) | instskip(NEXT) | instid1(VALU_DEP_1)
	v_mul_f32_e32 v20, v14, v11
	v_fma_f32 v21, -v5, v20, v14
	s_delay_alu instid0(VALU_DEP_1) | instskip(NEXT) | instid1(VALU_DEP_1)
	v_fmac_f32_e32 v20, v21, v11
	v_fma_f32 v5, -v5, v20, v14
	s_delay_alu instid0(VALU_DEP_1) | instskip(NEXT) | instid1(VALU_DEP_1)
	v_div_fmas_f32 v5, v5, v11, v20
	v_div_fixup_f32 v1, v5, v1, v2
	s_delay_alu instid0(VALU_DEP_1) | instskip(NEXT) | instid1(VALU_DEP_1)
	v_mul_f32_e32 v1, v6, v1
	v_mul_f32_e32 v1, v15, v1
	s_delay_alu instid0(VALU_DEP_1) | instskip(NEXT) | instid1(VALU_DEP_1)
	v_minmax_f32 v6, v1, s25, 0xc3600000
	v_lshrrev_b32_e32 v5, 24, v6
	v_and_b32_e32 v11, 0x7f800000, v6
	s_delay_alu instid0(VALU_DEP_2) | instskip(NEXT) | instid1(VALU_DEP_2)
	v_or_b32_e32 v1, 0x7f, v5
	v_cmpx_ne_u64_e32 0x7f800000, v[11:12]
	s_xor_b32 s26, exec_lo, s0
	s_cbranch_execz .LBB1_28
; %bb.19:                               ;   in Loop: Header=BB1_8 Depth=1
	v_and_b32_e32 v11, 0x7fffffff, v6
	s_mov_b32 s0, exec_lo
	s_delay_alu instid0(VALU_DEP_1)
	v_cmpx_gt_u64_e32 0x43700001, v[11:12]
	s_xor_b32 s27, exec_lo, s0
	s_cbranch_execz .LBB1_27
; %bb.20:                               ;   in Loop: Header=BB1_8 Depth=1
	s_mov_b32 s28, exec_lo
	v_mov_b32_e32 v1, 0
	v_mov_b32_e32 v2, 0
	v_cmpx_ne_u32_e32 0, v6
	s_cbranch_execz .LBB1_26
; %bb.21:                               ;   in Loop: Header=BB1_8 Depth=1
	v_bfe_u32 v14, v6, 23, 8
	v_and_b32_e32 v2, 0x7fffff, v6
	s_delay_alu instid0(VALU_DEP_2) | instskip(SKIP_2) | instid1(VALU_DEP_3)
	v_sub_nc_u32_e64 v1, 0x78, v14 clamp
	v_cmp_eq_u32_e32 vcc_lo, 0, v14
	v_add_nc_u32_e32 v14, 0xffffff89, v14
	v_cndmask_b32_e64 v6, v1, 0x77, vcc_lo
	v_or_b32_e32 v1, 0x800000, v2
	s_delay_alu instid0(VALU_DEP_2) | instskip(NEXT) | instid1(VALU_DEP_2)
	v_add_nc_u32_e32 v20, 20, v6
	v_cndmask_b32_e32 v11, v1, v2, vcc_lo
	s_delay_alu instid0(VALU_DEP_2) | instskip(SKIP_2) | instid1(VALU_DEP_4)
	v_lshlrev_b64 v[1:2], v20, -1
	v_mov_b32_e32 v2, v12
	v_add_nc_u32_e32 v20, 19, v6
	v_lshrrev_b64 v[21:22], v6, v[11:12]
	s_delay_alu instid0(VALU_DEP_4) | instskip(NEXT) | instid1(VALU_DEP_3)
	v_not_b32_e32 v1, v1
	v_lshlrev_b64 v[23:24], v20, 1
	s_delay_alu instid0(VALU_DEP_2) | instskip(NEXT) | instid1(VALU_DEP_4)
	v_and_b32_e32 v1, v11, v1
	v_and_b32_e32 v11, 0x100000, v21
	s_delay_alu instid0(VALU_DEP_2) | instskip(NEXT) | instid1(VALU_DEP_2)
	v_cmp_eq_u64_e64 s0, v[1:2], v[23:24]
	v_cmp_eq_u64_e64 s1, 0, v[11:12]
	v_cndmask_b32_e64 v1, v14, 0xffffff8a, vcc_lo
	v_lshrrev_b32_e32 v2, 23, v21
	s_delay_alu instid0(VALU_DEP_3) | instskip(NEXT) | instid1(VALU_DEP_1)
	s_and_b32 vcc_lo, s1, s0
	v_add3_u32 v14, v1, v6, v2
	v_subrev_co_ci_u32_e32 v11, vcc_lo, 0, v21, vcc_lo
	s_mov_b32 s0, exec_lo
                                        ; implicit-def: $vgpr6
	s_delay_alu instid0(VALU_DEP_2) | instskip(NEXT) | instid1(VALU_DEP_2)
	v_add_nc_u32_e32 v20, -1, v14
	v_and_b32_e32 v1, 0xfffff, v11
	s_delay_alu instid0(VALU_DEP_1) | instskip(SKIP_1) | instid1(VALU_DEP_4)
	v_add_co_u32 v1, vcc_lo, v1, v21
	v_add_co_ci_u32_e32 v2, vcc_lo, 0, v22, vcc_lo
	v_cmpx_ne_u32_e32 0, v20
	s_xor_b32 s0, exec_lo, s0
; %bb.22:                               ;   in Loop: Header=BB1_8 Depth=1
	s_delay_alu instid0(VALU_DEP_3) | instskip(SKIP_1) | instid1(VALU_DEP_2)
	v_and_b32_e32 v11, 0x1000000, v1
	v_bfe_u32 v6, v1, 24, 1
	v_cmp_eq_u64_e32 vcc_lo, 0, v[11:12]
	s_delay_alu instid0(VALU_DEP_2)
	v_lshrrev_b64 v[1:2], v6, v[1:2]
	v_cndmask_b32_e32 v6, v14, v20, vcc_lo
; %bb.23:                               ;   in Loop: Header=BB1_8 Depth=1
	s_and_not1_saveexec_b32 s0, s0
; %bb.24:                               ;   in Loop: Header=BB1_8 Depth=1
	s_delay_alu instid0(VALU_DEP_2)
	v_bfe_u32 v6, v1, 23, 1
; %bb.25:                               ;   in Loop: Header=BB1_8 Depth=1
	s_or_b32 exec_lo, exec_lo, s0
	s_delay_alu instid0(VALU_DEP_3) | instskip(NEXT) | instid1(VALU_DEP_2)
	v_lshrrev_b64 v[1:2], 20, v[1:2]
	v_cmp_gt_i32_e32 vcc_lo, 16, v6
	v_and_b32_e32 v5, 0x80, v5
	v_min_i32_e32 v11, 15, v6
	v_cmp_eq_u32_e64 s0, 0, v6
	v_dual_cndmask_b32 v2, 0, v2 :: v_dual_cndmask_b32 v1, 7, v1
	s_delay_alu instid0(VALU_DEP_3) | instskip(NEXT) | instid1(VALU_DEP_2)
	v_lshl_or_b32 v5, v11, 3, v5
	v_cmp_eq_u64_e32 vcc_lo, 0, v[1:2]
	s_delay_alu instid0(VALU_DEP_2)
	v_and_or_b32 v1, v1, 7, v5
	s_and_b32 s0, s0, vcc_lo
	s_delay_alu instid0(VALU_DEP_1) | instid1(SALU_CYCLE_1)
	v_cndmask_b32_e64 v1, v1, 0, s0
.LBB1_26:                               ;   in Loop: Header=BB1_8 Depth=1
	s_or_b32 exec_lo, exec_lo, s28
.LBB1_27:                               ;   in Loop: Header=BB1_8 Depth=1
	s_and_not1_saveexec_b32 s0, s27
	s_delay_alu instid0(SALU_CYCLE_1)
	s_or_b32 exec_lo, exec_lo, s0
.LBB1_28:                               ;   in Loop: Header=BB1_8 Depth=1
	s_and_not1_saveexec_b32 s0, s26
	s_delay_alu instid0(SALU_CYCLE_1) | instskip(SKIP_3) | instid1(VALU_DEP_2)
	s_or_b32 exec_lo, exec_lo, s0
	v_mul_f32_e32 v2, 0xbfb8aa3b, v3
	v_cmp_nlt_f32_e32 vcc_lo, 0x42ce8ed0, v3
	s_mov_b32 s0, exec_lo
	v_rndne_f32_e32 v5, v2
	v_fma_f32 v6, 0xbfb8aa3b, v3, -v2
	s_delay_alu instid0(VALU_DEP_2) | instskip(NEXT) | instid1(VALU_DEP_2)
	v_sub_f32_e32 v2, v2, v5
	v_fmac_f32_e32 v6, 0xb2a5705f, v3
	v_cvt_i32_f32_e32 v5, v5
	s_delay_alu instid0(VALU_DEP_2) | instskip(NEXT) | instid1(VALU_DEP_1)
	v_add_f32_e32 v2, v2, v6
	v_exp_f32_e32 v2, v2
	s_waitcnt_depctr 0xfff
	v_ldexp_f32 v2, v2, v5
	s_delay_alu instid0(VALU_DEP_1) | instskip(SKIP_1) | instid1(VALU_DEP_2)
	v_cndmask_b32_e32 v2, 0, v2, vcc_lo
	v_cmp_ngt_f32_e32 vcc_lo, 0xc2b17218, v3
	v_cndmask_b32_e32 v2, 0x7f800000, v2, vcc_lo
	s_delay_alu instid0(VALU_DEP_1) | instskip(NEXT) | instid1(VALU_DEP_1)
	v_add_f32_e32 v2, 1.0, v2
	v_div_scale_f32 v5, null, v2, v2, v3
	s_delay_alu instid0(VALU_DEP_1) | instskip(SKIP_2) | instid1(VALU_DEP_1)
	v_rcp_f32_e32 v6, v5
	s_waitcnt_depctr 0xfff
	v_fma_f32 v11, -v5, v6, 1.0
	v_fmac_f32_e32 v6, v11, v6
	v_div_scale_f32 v11, vcc_lo, v3, v2, v3
	s_delay_alu instid0(VALU_DEP_1) | instskip(NEXT) | instid1(VALU_DEP_1)
	v_mul_f32_e32 v14, v11, v6
	v_fma_f32 v20, -v5, v14, v11
	s_delay_alu instid0(VALU_DEP_1) | instskip(NEXT) | instid1(VALU_DEP_1)
	v_fmac_f32_e32 v14, v20, v6
	v_fma_f32 v5, -v5, v14, v11
	s_delay_alu instid0(VALU_DEP_1) | instskip(NEXT) | instid1(VALU_DEP_1)
	v_div_fmas_f32 v5, v5, v6, v14
	v_div_fixup_f32 v2, v5, v2, v3
	s_delay_alu instid0(VALU_DEP_1) | instskip(NEXT) | instid1(VALU_DEP_1)
	v_mul_f32_e32 v2, v7, v2
	v_mul_f32_e32 v2, v15, v2
	s_delay_alu instid0(VALU_DEP_1) | instskip(NEXT) | instid1(VALU_DEP_1)
	v_minmax_f32 v6, v2, s25, 0xc3600000
	v_and_b32_e32 v11, 0x7f800000, v6
	v_lshrrev_b32_e32 v5, 24, v6
	s_delay_alu instid0(VALU_DEP_1) | instskip(NEXT) | instid1(VALU_DEP_3)
	v_or_b32_e32 v2, 0x7f, v5
	v_cmpx_ne_u64_e32 0x7f800000, v[11:12]
	s_xor_b32 s26, exec_lo, s0
	s_cbranch_execz .LBB1_38
; %bb.29:                               ;   in Loop: Header=BB1_8 Depth=1
	v_and_b32_e32 v11, 0x7fffffff, v6
	s_mov_b32 s0, exec_lo
	s_delay_alu instid0(VALU_DEP_1)
	v_cmpx_gt_u64_e32 0x43700001, v[11:12]
	s_xor_b32 s27, exec_lo, s0
	s_cbranch_execz .LBB1_37
; %bb.30:                               ;   in Loop: Header=BB1_8 Depth=1
	s_mov_b32 s28, exec_lo
	v_mov_b32_e32 v2, 0
	v_mov_b32_e32 v3, 0
	v_cmpx_ne_u32_e32 0, v6
	s_cbranch_execz .LBB1_36
; %bb.31:                               ;   in Loop: Header=BB1_8 Depth=1
	v_bfe_u32 v14, v6, 23, 8
	v_and_b32_e32 v3, 0x7fffff, v6
	s_delay_alu instid0(VALU_DEP_2) | instskip(SKIP_2) | instid1(VALU_DEP_3)
	v_sub_nc_u32_e64 v2, 0x78, v14 clamp
	v_cmp_eq_u32_e32 vcc_lo, 0, v14
	v_add_nc_u32_e32 v14, 0xffffff89, v14
	v_cndmask_b32_e64 v22, v2, 0x77, vcc_lo
	v_or_b32_e32 v2, 0x800000, v3
	s_delay_alu instid0(VALU_DEP_1) | instskip(NEXT) | instid1(VALU_DEP_1)
	v_dual_cndmask_b32 v11, v2, v3 :: v_dual_add_nc_u32 v6, 20, v22
	v_lshlrev_b64 v[2:3], v6, -1
	v_dual_mov_b32 v3, v12 :: v_dual_add_nc_u32 v6, 19, v22
	s_delay_alu instid0(VALU_DEP_3) | instskip(NEXT) | instid1(VALU_DEP_2)
	v_lshrrev_b64 v[20:21], v22, v[11:12]
	v_lshlrev_b64 v[6:7], v6, 1
	s_delay_alu instid0(VALU_DEP_4) | instskip(NEXT) | instid1(VALU_DEP_1)
	v_not_b32_e32 v2, v2
	v_and_b32_e32 v2, v11, v2
	s_delay_alu instid0(VALU_DEP_4) | instskip(NEXT) | instid1(VALU_DEP_2)
	v_and_b32_e32 v11, 0x100000, v20
	v_cmp_eq_u64_e64 s0, v[2:3], v[6:7]
	s_delay_alu instid0(VALU_DEP_2) | instskip(SKIP_2) | instid1(VALU_DEP_3)
	v_cmp_eq_u64_e64 s1, 0, v[11:12]
	v_cndmask_b32_e64 v2, v14, 0xffffff8a, vcc_lo
	v_lshrrev_b32_e32 v3, 23, v20
	s_and_b32 vcc_lo, s1, s0
	s_delay_alu instid0(VALU_DEP_1) | instskip(SKIP_2) | instid1(VALU_DEP_2)
	v_add3_u32 v7, v2, v22, v3
	v_subrev_co_ci_u32_e32 v6, vcc_lo, 0, v20, vcc_lo
	s_mov_b32 s0, exec_lo
	v_add_nc_u32_e32 v14, -1, v7
	s_delay_alu instid0(VALU_DEP_2) | instskip(NEXT) | instid1(VALU_DEP_1)
	v_and_b32_e32 v2, 0xfffff, v6
                                        ; implicit-def: $vgpr6
	v_add_co_u32 v2, vcc_lo, v2, v20
	v_add_co_ci_u32_e32 v3, vcc_lo, 0, v21, vcc_lo
	s_delay_alu instid0(VALU_DEP_4)
	v_cmpx_ne_u32_e32 0, v14
	s_xor_b32 s0, exec_lo, s0
; %bb.32:                               ;   in Loop: Header=BB1_8 Depth=1
	s_delay_alu instid0(VALU_DEP_3) | instskip(SKIP_1) | instid1(VALU_DEP_2)
	v_and_b32_e32 v11, 0x1000000, v2
	v_bfe_u32 v6, v2, 24, 1
	v_cmp_eq_u64_e32 vcc_lo, 0, v[11:12]
	s_delay_alu instid0(VALU_DEP_2)
	v_lshrrev_b64 v[2:3], v6, v[2:3]
	v_cndmask_b32_e32 v6, v7, v14, vcc_lo
; %bb.33:                               ;   in Loop: Header=BB1_8 Depth=1
	s_and_not1_saveexec_b32 s0, s0
; %bb.34:                               ;   in Loop: Header=BB1_8 Depth=1
	s_delay_alu instid0(VALU_DEP_2)
	v_bfe_u32 v6, v2, 23, 1
; %bb.35:                               ;   in Loop: Header=BB1_8 Depth=1
	s_or_b32 exec_lo, exec_lo, s0
	s_delay_alu instid0(VALU_DEP_3) | instskip(NEXT) | instid1(VALU_DEP_2)
	v_lshrrev_b64 v[2:3], 20, v[2:3]
	v_cmp_gt_i32_e32 vcc_lo, 16, v6
	v_and_b32_e32 v5, 0x80, v5
	v_min_i32_e32 v7, 15, v6
	v_cmp_eq_u32_e64 s0, 0, v6
	v_dual_cndmask_b32 v2, 7, v2 :: v_dual_cndmask_b32 v3, 0, v3
	s_delay_alu instid0(VALU_DEP_3) | instskip(NEXT) | instid1(VALU_DEP_2)
	v_lshl_or_b32 v5, v7, 3, v5
	v_cmp_eq_u64_e32 vcc_lo, 0, v[2:3]
	s_delay_alu instid0(VALU_DEP_2)
	v_and_or_b32 v2, v2, 7, v5
	s_and_b32 s0, s0, vcc_lo
	s_delay_alu instid0(VALU_DEP_1) | instid1(SALU_CYCLE_1)
	v_cndmask_b32_e64 v2, v2, 0, s0
.LBB1_36:                               ;   in Loop: Header=BB1_8 Depth=1
	s_or_b32 exec_lo, exec_lo, s28
.LBB1_37:                               ;   in Loop: Header=BB1_8 Depth=1
	s_and_not1_saveexec_b32 s0, s27
	s_delay_alu instid0(SALU_CYCLE_1)
	s_or_b32 exec_lo, exec_lo, s0
.LBB1_38:                               ;   in Loop: Header=BB1_8 Depth=1
	s_and_not1_saveexec_b32 s0, s26
	s_delay_alu instid0(SALU_CYCLE_1) | instskip(SKIP_3) | instid1(VALU_DEP_2)
	s_or_b32 exec_lo, exec_lo, s0
	v_mul_f32_e32 v3, 0xbfb8aa3b, v4
	v_cmp_nlt_f32_e32 vcc_lo, 0x42ce8ed0, v4
	s_mov_b32 s0, exec_lo
	v_rndne_f32_e32 v5, v3
	v_fma_f32 v6, 0xbfb8aa3b, v4, -v3
	s_delay_alu instid0(VALU_DEP_1) | instskip(SKIP_1) | instid1(VALU_DEP_2)
	v_dual_sub_f32 v3, v3, v5 :: v_dual_fmac_f32 v6, 0xb2a5705f, v4
	v_cvt_i32_f32_e32 v5, v5
	v_add_f32_e32 v3, v3, v6
	s_delay_alu instid0(VALU_DEP_1) | instskip(SKIP_2) | instid1(VALU_DEP_1)
	v_exp_f32_e32 v3, v3
	s_waitcnt_depctr 0xfff
	v_ldexp_f32 v3, v3, v5
	v_cndmask_b32_e32 v3, 0, v3, vcc_lo
	v_cmp_ngt_f32_e32 vcc_lo, 0xc2b17218, v4
	s_delay_alu instid0(VALU_DEP_2) | instskip(NEXT) | instid1(VALU_DEP_1)
	v_cndmask_b32_e32 v3, 0x7f800000, v3, vcc_lo
	v_add_f32_e32 v3, 1.0, v3
	s_delay_alu instid0(VALU_DEP_1) | instskip(NEXT) | instid1(VALU_DEP_1)
	v_div_scale_f32 v5, null, v3, v3, v4
	v_rcp_f32_e32 v6, v5
	s_waitcnt_depctr 0xfff
	v_fma_f32 v7, -v5, v6, 1.0
	s_delay_alu instid0(VALU_DEP_1) | instskip(SKIP_1) | instid1(VALU_DEP_1)
	v_fmac_f32_e32 v6, v7, v6
	v_div_scale_f32 v7, vcc_lo, v4, v3, v4
	v_mul_f32_e32 v11, v7, v6
	s_delay_alu instid0(VALU_DEP_1) | instskip(NEXT) | instid1(VALU_DEP_1)
	v_fma_f32 v14, -v5, v11, v7
	v_fmac_f32_e32 v11, v14, v6
	s_delay_alu instid0(VALU_DEP_1) | instskip(NEXT) | instid1(VALU_DEP_1)
	v_fma_f32 v5, -v5, v11, v7
	v_div_fmas_f32 v5, v5, v6, v11
	s_delay_alu instid0(VALU_DEP_1) | instskip(NEXT) | instid1(VALU_DEP_1)
	v_div_fixup_f32 v3, v5, v3, v4
	v_mul_f32_e32 v3, v8, v3
	s_delay_alu instid0(VALU_DEP_1) | instskip(NEXT) | instid1(VALU_DEP_1)
	v_mul_f32_e32 v3, v15, v3
	v_minmax_f32 v6, v3, s25, 0xc3600000
	s_delay_alu instid0(VALU_DEP_1) | instskip(SKIP_1) | instid1(VALU_DEP_2)
	v_lshrrev_b32_e32 v5, 24, v6
	v_and_b32_e32 v11, 0x7f800000, v6
	v_or_b32_e32 v3, 0x7f, v5
	s_delay_alu instid0(VALU_DEP_2)
	v_cmpx_ne_u64_e32 0x7f800000, v[11:12]
	s_xor_b32 s26, exec_lo, s0
	s_cbranch_execz .LBB1_7
; %bb.39:                               ;   in Loop: Header=BB1_8 Depth=1
	v_and_b32_e32 v11, 0x7fffffff, v6
	s_mov_b32 s0, exec_lo
	s_delay_alu instid0(VALU_DEP_1)
	v_cmpx_gt_u64_e32 0x43700001, v[11:12]
	s_xor_b32 s27, exec_lo, s0
	s_cbranch_execz .LBB1_6
; %bb.40:                               ;   in Loop: Header=BB1_8 Depth=1
	s_mov_b32 s28, exec_lo
	v_mov_b32_e32 v3, 0
	v_mov_b32_e32 v4, 0
	v_cmpx_ne_u32_e32 0, v6
	s_cbranch_execz .LBB1_5
; %bb.41:                               ;   in Loop: Header=BB1_8 Depth=1
	v_bfe_u32 v8, v6, 23, 8
	v_and_b32_e32 v4, 0x7fffff, v6
	s_delay_alu instid0(VALU_DEP_2) | instskip(SKIP_2) | instid1(VALU_DEP_3)
	v_sub_nc_u32_e64 v3, 0x78, v8 clamp
	v_cmp_eq_u32_e32 vcc_lo, 0, v8
	v_add_nc_u32_e32 v8, 0xffffff89, v8
	v_cndmask_b32_e64 v14, v3, 0x77, vcc_lo
	v_or_b32_e32 v3, 0x800000, v4
	s_delay_alu instid0(VALU_DEP_1) | instskip(NEXT) | instid1(VALU_DEP_1)
	v_dual_cndmask_b32 v11, v3, v4 :: v_dual_add_nc_u32 v6, 20, v14
	v_lshlrev_b64 v[3:4], v6, -1
	v_add_nc_u32_e32 v6, 19, v14
	s_delay_alu instid0(VALU_DEP_3) | instskip(NEXT) | instid1(VALU_DEP_2)
	v_lshrrev_b64 v[20:21], v14, v[11:12]
	v_lshlrev_b64 v[6:7], v6, 1
	s_delay_alu instid0(VALU_DEP_4) | instskip(NEXT) | instid1(VALU_DEP_1)
	v_not_b32_e32 v3, v3
	v_dual_mov_b32 v4, v12 :: v_dual_and_b32 v3, v11, v3
	s_delay_alu instid0(VALU_DEP_4) | instskip(NEXT) | instid1(VALU_DEP_2)
	v_and_b32_e32 v11, 0x100000, v20
	v_cmp_eq_u64_e64 s0, v[3:4], v[6:7]
	s_delay_alu instid0(VALU_DEP_2) | instskip(SKIP_2) | instid1(VALU_DEP_3)
	v_cmp_eq_u64_e64 s1, 0, v[11:12]
	v_cndmask_b32_e64 v3, v8, 0xffffff8a, vcc_lo
	v_lshrrev_b32_e32 v4, 23, v20
	s_and_b32 vcc_lo, s1, s0
	s_delay_alu instid0(VALU_DEP_1) | instskip(SKIP_2) | instid1(VALU_DEP_2)
	v_add3_u32 v7, v3, v14, v4
	v_subrev_co_ci_u32_e32 v6, vcc_lo, 0, v20, vcc_lo
	s_mov_b32 s0, exec_lo
	v_add_nc_u32_e32 v8, -1, v7
	s_delay_alu instid0(VALU_DEP_2) | instskip(NEXT) | instid1(VALU_DEP_1)
	v_and_b32_e32 v3, 0xfffff, v6
                                        ; implicit-def: $vgpr6
	v_add_co_u32 v3, vcc_lo, v3, v20
	v_add_co_ci_u32_e32 v4, vcc_lo, 0, v21, vcc_lo
	s_delay_alu instid0(VALU_DEP_4)
	v_cmpx_ne_u32_e32 0, v8
	s_xor_b32 s0, exec_lo, s0
; %bb.42:                               ;   in Loop: Header=BB1_8 Depth=1
	s_delay_alu instid0(VALU_DEP_3) | instskip(SKIP_1) | instid1(VALU_DEP_2)
	v_and_b32_e32 v11, 0x1000000, v3
	v_bfe_u32 v6, v3, 24, 1
	v_cmp_eq_u64_e32 vcc_lo, 0, v[11:12]
	s_delay_alu instid0(VALU_DEP_2)
	v_lshrrev_b64 v[3:4], v6, v[3:4]
	v_cndmask_b32_e32 v6, v7, v8, vcc_lo
; %bb.43:                               ;   in Loop: Header=BB1_8 Depth=1
	s_and_not1_saveexec_b32 s0, s0
	s_cbranch_execz .LBB1_4
; %bb.44:                               ;   in Loop: Header=BB1_8 Depth=1
	s_delay_alu instid0(VALU_DEP_2)
	v_bfe_u32 v6, v3, 23, 1
	s_branch .LBB1_4
.LBB1_45:
	s_or_b32 exec_lo, exec_lo, s18
	s_sub_i32 s0, 4, s3
	s_delay_alu instid0(SALU_CYCLE_1)
	s_cmp_gt_i32 s2, s0
	s_cbranch_scc0 .LBB1_59
; %bb.46:
	v_add_nc_u32_e32 v0, s0, v0
	s_mov_b32 s0, exec_lo
	s_delay_alu instid0(VALU_DEP_1)
	v_cmpx_gt_i32_e64 s2, v0
	s_cbranch_execz .LBB1_59
; %bb.47:
	s_load_b32 s13, s[8:9], 0xc
	v_dual_mov_b32 v1, 0 :: v_dual_lshlrev_b32 v2, 2, v0
	s_ashr_i32 s3, s2, 31
	s_add_u32 s9, s4, s10
	s_addc_u32 s12, s5, s11
	s_lshl_b64 s[0:1], s[14:15], 3
	v_add_co_u32 v6, s6, s6, v2
	s_or_b32 s0, s0, 4
	s_lshl_b64 s[4:5], s[10:11], 3
	v_add_co_ci_u32_e64 v7, null, s7, 0, s6
	s_mul_i32 s7, s0, s17
	s_mul_hi_u32 s10, s0, s16
	v_dual_mov_b32 v3, v1 :: v_dual_mov_b32 v2, v0
	s_mul_i32 s1, s1, s16
	s_mul_i32 s6, s0, s16
	s_add_i32 s0, s10, s7
	s_waitcnt lgkmcnt(0)
	s_and_b32 s7, s13, 0xffff
	s_mov_b32 s8, 0
	s_add_i32 s10, s0, s1
	s_lshl_b32 s11, s7, 2
	s_mov_b32 s13, 0x43600000
	s_branch .LBB1_52
.LBB1_48:                               ;   in Loop: Header=BB1_52 Depth=1
	s_or_b32 exec_lo, exec_lo, s0
	s_delay_alu instid0(VALU_DEP_2) | instskip(NEXT) | instid1(VALU_DEP_2)
	v_lshrrev_b64 v[4:5], 20, v[4:5]
	v_cmp_gt_i32_e32 vcc_lo, 16, v0
	v_and_b32_e32 v8, 0x80, v8
	v_min_i32_e32 v9, 15, v0
	v_cmp_eq_u32_e64 s0, 0, v0
	v_dual_cndmask_b32 v5, 0, v5 :: v_dual_cndmask_b32 v4, 7, v4
	s_delay_alu instid0(VALU_DEP_3) | instskip(NEXT) | instid1(VALU_DEP_2)
	v_lshl_or_b32 v8, v9, 3, v8
	v_cmp_eq_u64_e32 vcc_lo, 0, v[4:5]
	s_delay_alu instid0(VALU_DEP_2)
	v_and_or_b32 v0, v4, 7, v8
	s_and_b32 s0, s0, vcc_lo
	s_delay_alu instid0(VALU_DEP_1) | instid1(SALU_CYCLE_1)
	v_cndmask_b32_e64 v4, v0, 0, s0
.LBB1_49:                               ;   in Loop: Header=BB1_52 Depth=1
	s_or_b32 exec_lo, exec_lo, s16
.LBB1_50:                               ;   in Loop: Header=BB1_52 Depth=1
	s_and_not1_saveexec_b32 s0, s15
	s_delay_alu instid0(SALU_CYCLE_1)
	s_or_b32 exec_lo, exec_lo, s0
.LBB1_51:                               ;   in Loop: Header=BB1_52 Depth=1
	s_and_not1_saveexec_b32 s0, s14
	s_delay_alu instid0(SALU_CYCLE_1)
	s_or_b32 exec_lo, exec_lo, s0
	v_add_co_u32 v8, vcc_lo, s9, v2
	v_add_co_ci_u32_e32 v9, vcc_lo, s12, v3, vcc_lo
	v_add_co_u32 v2, vcc_lo, v2, s7
	v_add_co_ci_u32_e32 v3, vcc_lo, 0, v3, vcc_lo
	v_add_co_u32 v6, s0, v6, s11
	s_delay_alu instid0(VALU_DEP_1) | instskip(NEXT) | instid1(VALU_DEP_3)
	v_add_co_ci_u32_e64 v7, s0, 0, v7, s0
	v_cmp_le_i64_e32 vcc_lo, s[2:3], v[2:3]
	global_store_b8 v[8:9], v4, off
	s_or_b32 s8, vcc_lo, s8
	s_delay_alu instid0(SALU_CYCLE_1)
	s_and_not1_b32 exec_lo, exec_lo, s8
	s_cbranch_execz .LBB1_59
.LBB1_52:                               ; =>This Inner Loop Header: Depth=1
	v_add_co_u32 v4, vcc_lo, v6, s4
	v_add_co_ci_u32_e32 v5, vcc_lo, s5, v7, vcc_lo
	s_mov_b32 s0, exec_lo
	global_load_b32 v0, v[4:5], off
	v_add_co_u32 v4, vcc_lo, v6, s6
	v_add_co_ci_u32_e32 v5, vcc_lo, s10, v7, vcc_lo
	global_load_b32 v4, v[4:5], off
	s_waitcnt vmcnt(1)
	v_mul_f32_e32 v5, 0xbfb8aa3b, v0
	v_cmp_nlt_f32_e32 vcc_lo, 0x42ce8ed0, v0
	s_delay_alu instid0(VALU_DEP_2) | instskip(SKIP_1) | instid1(VALU_DEP_1)
	v_fma_f32 v8, 0xbfb8aa3b, v0, -v5
	v_rndne_f32_e32 v9, v5
	v_dual_fmac_f32 v8, 0xb2a5705f, v0 :: v_dual_sub_f32 v5, v5, v9
	s_delay_alu instid0(VALU_DEP_1) | instskip(SKIP_1) | instid1(VALU_DEP_2)
	v_add_f32_e32 v5, v5, v8
	v_cvt_i32_f32_e32 v8, v9
	v_exp_f32_e32 v5, v5
	s_waitcnt_depctr 0xfff
	v_ldexp_f32 v5, v5, v8
	s_delay_alu instid0(VALU_DEP_1) | instskip(SKIP_1) | instid1(VALU_DEP_2)
	v_cndmask_b32_e32 v5, 0, v5, vcc_lo
	v_cmp_ngt_f32_e32 vcc_lo, 0xc2b17218, v0
	v_cndmask_b32_e32 v5, 0x7f800000, v5, vcc_lo
	s_delay_alu instid0(VALU_DEP_1) | instskip(NEXT) | instid1(VALU_DEP_1)
	v_add_f32_e32 v5, 1.0, v5
	v_div_scale_f32 v8, null, v5, v5, v0
	s_delay_alu instid0(VALU_DEP_1) | instskip(SKIP_2) | instid1(VALU_DEP_1)
	v_rcp_f32_e32 v9, v8
	s_waitcnt_depctr 0xfff
	v_fma_f32 v10, -v8, v9, 1.0
	v_fmac_f32_e32 v9, v10, v9
	v_div_scale_f32 v10, vcc_lo, v0, v5, v0
	s_delay_alu instid0(VALU_DEP_1) | instskip(NEXT) | instid1(VALU_DEP_1)
	v_mul_f32_e32 v11, v10, v9
	v_fma_f32 v12, -v8, v11, v10
	s_delay_alu instid0(VALU_DEP_1) | instskip(NEXT) | instid1(VALU_DEP_1)
	v_fmac_f32_e32 v11, v12, v9
	v_fma_f32 v8, -v8, v11, v10
	s_delay_alu instid0(VALU_DEP_1) | instskip(NEXT) | instid1(VALU_DEP_1)
	v_div_fmas_f32 v8, v8, v9, v11
	v_div_fixup_f32 v0, v8, v5, v0
	s_waitcnt vmcnt(0)
	s_delay_alu instid0(VALU_DEP_1) | instskip(NEXT) | instid1(VALU_DEP_1)
	v_mul_f32_e32 v0, v4, v0
	v_mul_f32_e32 v0, v15, v0
	s_delay_alu instid0(VALU_DEP_1) | instskip(NEXT) | instid1(VALU_DEP_1)
	v_minmax_f32 v5, v0, s13, 0xc3600000
	v_lshrrev_b32_e32 v8, 24, v5
	v_and_b32_e32 v0, 0x7f800000, v5
	s_delay_alu instid0(VALU_DEP_2) | instskip(NEXT) | instid1(VALU_DEP_2)
	v_or_b32_e32 v4, 0x7f, v8
	v_cmpx_ne_u64_e32 0x7f800000, v[0:1]
	s_xor_b32 s14, exec_lo, s0
	s_cbranch_execz .LBB1_51
; %bb.53:                               ;   in Loop: Header=BB1_52 Depth=1
	v_and_b32_e32 v0, 0x7fffffff, v5
	s_mov_b32 s0, exec_lo
	s_delay_alu instid0(VALU_DEP_1)
	v_cmpx_gt_u64_e32 0x43700001, v[0:1]
	s_xor_b32 s15, exec_lo, s0
	s_cbranch_execz .LBB1_50
; %bb.54:                               ;   in Loop: Header=BB1_52 Depth=1
	v_mov_b32_e32 v4, 0
	s_mov_b32 s16, exec_lo
	v_cmpx_ne_u32_e32 0, v5
	s_cbranch_execz .LBB1_49
; %bb.55:                               ;   in Loop: Header=BB1_52 Depth=1
	v_bfe_u32 v13, v5, 23, 8
	v_and_b32_e32 v4, 0x7fffff, v5
	s_delay_alu instid0(VALU_DEP_2) | instskip(SKIP_2) | instid1(VALU_DEP_3)
	v_sub_nc_u32_e64 v0, 0x78, v13 clamp
	v_cmp_eq_u32_e32 vcc_lo, 0, v13
	v_add_nc_u32_e32 v13, 0xffffff89, v13
	v_cndmask_b32_e64 v14, v0, 0x77, vcc_lo
	v_or_b32_e32 v0, 0x800000, v4
	s_delay_alu instid0(VALU_DEP_1) | instskip(SKIP_1) | instid1(VALU_DEP_2)
	v_dual_cndmask_b32 v0, v0, v4 :: v_dual_add_nc_u32 v5, 20, v14
	v_add_nc_u32_e32 v9, 19, v14
	v_lshlrev_b64 v[4:5], v5, -1
	s_delay_alu instid0(VALU_DEP_3) | instskip(NEXT) | instid1(VALU_DEP_3)
	v_lshrrev_b64 v[11:12], v14, v[0:1]
	v_lshlrev_b64 v[9:10], v9, 1
	v_mov_b32_e32 v5, v1
	s_delay_alu instid0(VALU_DEP_4) | instskip(NEXT) | instid1(VALU_DEP_1)
	v_not_b32_e32 v4, v4
	v_and_b32_e32 v4, v0, v4
	v_and_b32_e32 v0, 0x100000, v11
	s_delay_alu instid0(VALU_DEP_2) | instskip(NEXT) | instid1(VALU_DEP_2)
	v_cmp_eq_u64_e64 s0, v[4:5], v[9:10]
	v_cmp_eq_u64_e64 s1, 0, v[0:1]
	v_cndmask_b32_e64 v0, v13, 0xffffff8a, vcc_lo
	v_lshrrev_b32_e32 v4, 23, v11
	s_delay_alu instid0(VALU_DEP_3) | instskip(NEXT) | instid1(VALU_DEP_1)
	s_and_b32 vcc_lo, s1, s0
	v_add3_u32 v9, v0, v14, v4
	v_subrev_co_ci_u32_e32 v5, vcc_lo, 0, v11, vcc_lo
	s_mov_b32 s0, exec_lo
	s_delay_alu instid0(VALU_DEP_2) | instskip(NEXT) | instid1(VALU_DEP_2)
	v_add_nc_u32_e32 v10, -1, v9
	v_and_b32_e32 v0, 0xfffff, v5
	s_delay_alu instid0(VALU_DEP_1) | instskip(SKIP_1) | instid1(VALU_DEP_4)
	v_add_co_u32 v4, vcc_lo, v0, v11
	v_add_co_ci_u32_e32 v5, vcc_lo, 0, v12, vcc_lo
                                        ; implicit-def: $vgpr0
	v_cmpx_ne_u32_e32 0, v10
	s_xor_b32 s0, exec_lo, s0
; %bb.56:                               ;   in Loop: Header=BB1_52 Depth=1
	s_delay_alu instid0(VALU_DEP_3) | instskip(SKIP_1) | instid1(VALU_DEP_2)
	v_and_b32_e32 v0, 0x1000000, v4
	v_bfe_u32 v11, v4, 24, 1
	v_cmp_eq_u64_e32 vcc_lo, 0, v[0:1]
	s_delay_alu instid0(VALU_DEP_2)
	v_lshrrev_b64 v[4:5], v11, v[4:5]
	v_cndmask_b32_e32 v0, v9, v10, vcc_lo
; %bb.57:                               ;   in Loop: Header=BB1_52 Depth=1
	s_and_not1_saveexec_b32 s0, s0
	s_cbranch_execz .LBB1_48
; %bb.58:                               ;   in Loop: Header=BB1_52 Depth=1
	s_delay_alu instid0(VALU_DEP_2)
	v_bfe_u32 v0, v4, 23, 1
	s_branch .LBB1_48
.LBB1_59:
	s_nop 0
	s_sendmsg sendmsg(MSG_DEALLOC_VGPRS)
	s_endpgm
	.section	.rodata,"a",@progbits
	.p2align	6, 0x0
	.amdhsa_kernel _ZN4vllm24act_and_mul_quant_kernelIfTnPFT_RKS1_EXadL_ZNS_11silu_kernelIfEES1_S3_EEN3c1015Float8_e4m3fnuzEEEvPT1_PS2_PKfi
		.amdhsa_group_segment_fixed_size 0
		.amdhsa_private_segment_fixed_size 0
		.amdhsa_kernarg_size 288
		.amdhsa_user_sgpr_count 14
		.amdhsa_user_sgpr_dispatch_ptr 0
		.amdhsa_user_sgpr_queue_ptr 0
		.amdhsa_user_sgpr_kernarg_segment_ptr 1
		.amdhsa_user_sgpr_dispatch_id 0
		.amdhsa_user_sgpr_private_segment_size 0
		.amdhsa_wavefront_size32 1
		.amdhsa_uses_dynamic_stack 0
		.amdhsa_enable_private_segment 0
		.amdhsa_system_sgpr_workgroup_id_x 1
		.amdhsa_system_sgpr_workgroup_id_y 1
		.amdhsa_system_sgpr_workgroup_id_z 0
		.amdhsa_system_sgpr_workgroup_info 0
		.amdhsa_system_vgpr_workitem_id 0
		.amdhsa_next_free_vgpr 26
		.amdhsa_next_free_sgpr 29
		.amdhsa_reserve_vcc 1
		.amdhsa_float_round_mode_32 0
		.amdhsa_float_round_mode_16_64 0
		.amdhsa_float_denorm_mode_32 3
		.amdhsa_float_denorm_mode_16_64 3
		.amdhsa_dx10_clamp 1
		.amdhsa_ieee_mode 1
		.amdhsa_fp16_overflow 0
		.amdhsa_workgroup_processor_mode 1
		.amdhsa_memory_ordered 1
		.amdhsa_forward_progress 0
		.amdhsa_shared_vgpr_count 0
		.amdhsa_exception_fp_ieee_invalid_op 0
		.amdhsa_exception_fp_denorm_src 0
		.amdhsa_exception_fp_ieee_div_zero 0
		.amdhsa_exception_fp_ieee_overflow 0
		.amdhsa_exception_fp_ieee_underflow 0
		.amdhsa_exception_fp_ieee_inexact 0
		.amdhsa_exception_int_div_zero 0
	.end_amdhsa_kernel
	.section	.text._ZN4vllm24act_and_mul_quant_kernelIfTnPFT_RKS1_EXadL_ZNS_11silu_kernelIfEES1_S3_EEN3c1015Float8_e4m3fnuzEEEvPT1_PS2_PKfi,"axG",@progbits,_ZN4vllm24act_and_mul_quant_kernelIfTnPFT_RKS1_EXadL_ZNS_11silu_kernelIfEES1_S3_EEN3c1015Float8_e4m3fnuzEEEvPT1_PS2_PKfi,comdat
.Lfunc_end1:
	.size	_ZN4vllm24act_and_mul_quant_kernelIfTnPFT_RKS1_EXadL_ZNS_11silu_kernelIfEES1_S3_EEN3c1015Float8_e4m3fnuzEEEvPT1_PS2_PKfi, .Lfunc_end1-_ZN4vllm24act_and_mul_quant_kernelIfTnPFT_RKS1_EXadL_ZNS_11silu_kernelIfEES1_S3_EEN3c1015Float8_e4m3fnuzEEEvPT1_PS2_PKfi
                                        ; -- End function
	.section	.AMDGPU.csdata,"",@progbits
; Kernel info:
; codeLenInByte = 4840
; NumSgprs: 31
; NumVgprs: 26
; ScratchSize: 0
; MemoryBound: 0
; FloatMode: 240
; IeeeMode: 1
; LDSByteSize: 0 bytes/workgroup (compile time only)
; SGPRBlocks: 3
; VGPRBlocks: 3
; NumSGPRsForWavesPerEU: 31
; NumVGPRsForWavesPerEU: 26
; Occupancy: 16
; WaveLimiterHint : 0
; COMPUTE_PGM_RSRC2:SCRATCH_EN: 0
; COMPUTE_PGM_RSRC2:USER_SGPR: 14
; COMPUTE_PGM_RSRC2:TRAP_HANDLER: 0
; COMPUTE_PGM_RSRC2:TGID_X_EN: 1
; COMPUTE_PGM_RSRC2:TGID_Y_EN: 1
; COMPUTE_PGM_RSRC2:TGID_Z_EN: 0
; COMPUTE_PGM_RSRC2:TIDIG_COMP_CNT: 0
	.section	.text._ZN4vllm24act_and_mul_quant_kernelIN3c104HalfETnPFT_RKS3_EXadL_ZNS_11silu_kernelIS2_EES3_S5_EENS1_13Float8_e4m3fnEEEvPT1_PS4_PKfi,"axG",@progbits,_ZN4vllm24act_and_mul_quant_kernelIN3c104HalfETnPFT_RKS3_EXadL_ZNS_11silu_kernelIS2_EES3_S5_EENS1_13Float8_e4m3fnEEEvPT1_PS4_PKfi,comdat
	.protected	_ZN4vllm24act_and_mul_quant_kernelIN3c104HalfETnPFT_RKS3_EXadL_ZNS_11silu_kernelIS2_EES3_S5_EENS1_13Float8_e4m3fnEEEvPT1_PS4_PKfi ; -- Begin function _ZN4vllm24act_and_mul_quant_kernelIN3c104HalfETnPFT_RKS3_EXadL_ZNS_11silu_kernelIS2_EES3_S5_EENS1_13Float8_e4m3fnEEEvPT1_PS4_PKfi
	.globl	_ZN4vllm24act_and_mul_quant_kernelIN3c104HalfETnPFT_RKS3_EXadL_ZNS_11silu_kernelIS2_EES3_S5_EENS1_13Float8_e4m3fnEEEvPT1_PS4_PKfi
	.p2align	8
	.type	_ZN4vllm24act_and_mul_quant_kernelIN3c104HalfETnPFT_RKS3_EXadL_ZNS_11silu_kernelIS2_EES3_S5_EENS1_13Float8_e4m3fnEEEvPT1_PS4_PKfi,@function
_ZN4vllm24act_and_mul_quant_kernelIN3c104HalfETnPFT_RKS3_EXadL_ZNS_11silu_kernelIS2_EES3_S5_EENS1_13Float8_e4m3fnEEEvPT1_PS4_PKfi: ; @_ZN4vllm24act_and_mul_quant_kernelIN3c104HalfETnPFT_RKS3_EXadL_ZNS_11silu_kernelIS2_EES3_S5_EENS1_13Float8_e4m3fnEEEvPT1_PS4_PKfi
; %bb.0:
	s_clause 0x1
	s_load_b32 s3, s[0:1], 0x24
	s_load_b32 s16, s[0:1], 0x18
	s_add_u32 s8, s0, 32
	s_addc_u32 s9, s1, 0
	s_mov_b32 s2, s15
	s_waitcnt lgkmcnt(0)
	s_abs_i32 s10, s3
	s_add_i32 s6, s16, s3
	v_cvt_f32_u32_e32 v1, s10
	s_sub_i32 s5, 0, s10
	s_add_i32 s11, s6, -1
	s_delay_alu instid0(SALU_CYCLE_1) | instskip(NEXT) | instid1(VALU_DEP_1)
	s_abs_i32 s12, s11
	v_rcp_iflag_f32_e32 v1, v1
	s_xor_b32 s3, s11, s3
	s_delay_alu instid0(SALU_CYCLE_1) | instskip(SKIP_2) | instid1(VALU_DEP_1)
	s_ashr_i32 s3, s3, 31
	s_waitcnt_depctr 0xfff
	v_mul_f32_e32 v1, 0x4f7ffffe, v1
	v_cvt_u32_f32_e32 v1, v1
	s_delay_alu instid0(VALU_DEP_1) | instskip(NEXT) | instid1(VALU_DEP_1)
	v_readfirstlane_b32 s4, v1
	s_mul_i32 s5, s5, s4
	s_delay_alu instid0(SALU_CYCLE_1) | instskip(NEXT) | instid1(SALU_CYCLE_1)
	s_mul_hi_u32 s5, s4, s5
	s_add_i32 s13, s4, s5
	s_load_b128 s[4:7], s[0:1], 0x0
	s_mul_hi_u32 s13, s12, s13
	s_delay_alu instid0(SALU_CYCLE_1) | instskip(NEXT) | instid1(SALU_CYCLE_1)
	s_mul_i32 s11, s13, s10
	s_sub_i32 s11, s12, s11
	s_add_i32 s12, s13, 1
	s_sub_i32 s15, s11, s10
	s_cmp_ge_u32 s11, s10
	s_cselect_b32 s12, s12, s13
	s_cselect_b32 s11, s15, s11
	s_add_i32 s13, s12, 1
	s_cmp_ge_u32 s11, s10
	s_mov_b32 s15, 0
	s_cselect_b32 s10, s13, s12
	s_delay_alu instid0(SALU_CYCLE_1) | instskip(NEXT) | instid1(SALU_CYCLE_1)
	s_xor_b32 s10, s10, s3
	s_sub_i32 s3, s10, s3
	s_delay_alu instid0(SALU_CYCLE_1) | instskip(NEXT) | instid1(SALU_CYCLE_1)
	s_and_b32 s10, s3, 7
	s_cmp_eq_u32 s10, 0
	s_cbranch_scc1 .LBB2_2
; %bb.1:
	s_ashr_i32 s10, s3, 31
	s_delay_alu instid0(SALU_CYCLE_1) | instskip(NEXT) | instid1(SALU_CYCLE_1)
	s_lshr_b32 s10, s10, 29
	s_add_i32 s3, s3, s10
	s_delay_alu instid0(SALU_CYCLE_1) | instskip(NEXT) | instid1(SALU_CYCLE_1)
	s_and_b32 s3, s3, -8
	s_add_i32 s3, s3, 8
.LBB2_2:
	s_load_b64 s[0:1], s[0:1], 0x10
	s_mul_i32 s10, s3, s2
	s_ashr_i32 s17, s16, 31
	s_add_i32 s2, s10, s3
	s_mul_hi_u32 s12, s16, s14
	s_min_i32 s2, s2, s16
	s_mul_i32 s13, s17, s14
	s_abs_i32 s3, s2
	s_mov_b32 s18, exec_lo
	v_cvt_f32_u32_e32 v1, s3
	s_sub_i32 s11, 0, s3
	s_delay_alu instid0(VALU_DEP_1) | instskip(SKIP_4) | instid1(VALU_DEP_1)
	v_rcp_iflag_f32_e32 v1, v1
	s_waitcnt lgkmcnt(0)
	s_load_b32 s1, s[0:1], 0x0
	s_waitcnt_depctr 0xfff
	v_mul_f32_e32 v1, 0x4f7ffffe, v1
	v_cvt_u32_f32_e32 v1, v1
	s_delay_alu instid0(VALU_DEP_1) | instskip(NEXT) | instid1(VALU_DEP_1)
	v_readfirstlane_b32 s0, v1
	s_mul_i32 s11, s11, s0
	s_waitcnt lgkmcnt(0)
	v_div_scale_f32 v2, null, s1, s1, 1.0
	s_mul_hi_u32 s11, s0, s11
	v_div_scale_f32 v4, vcc_lo, 1.0, s1, 1.0
	s_delay_alu instid0(VALU_DEP_2) | instskip(SKIP_3) | instid1(SALU_CYCLE_1)
	v_rcp_f32_e32 v1, v2
	s_add_i32 s0, s0, s11
	s_add_i32 s11, s12, s13
	s_lshr_b32 s0, s0, 29
	s_mul_i32 s0, s0, s3
	s_delay_alu instid0(SALU_CYCLE_1) | instskip(NEXT) | instid1(SALU_CYCLE_1)
	s_sub_i32 s0, 8, s0
	s_sub_i32 s12, s0, s3
	s_waitcnt_depctr 0xfff
	v_fma_f32 v3, -v2, v1, 1.0
	s_cmp_ge_u32 s0, s3
	s_cselect_b32 s0, s12, s0
	s_delay_alu instid0(SALU_CYCLE_1) | instskip(NEXT) | instid1(VALU_DEP_1)
	s_sub_i32 s12, s0, s3
	v_fmac_f32_e32 v1, v3, v1
	s_cmp_ge_u32 s0, s3
	s_cselect_b32 s3, s12, s0
	s_delay_alu instid0(VALU_DEP_1) | instskip(SKIP_3) | instid1(VALU_DEP_1)
	v_mul_f32_e32 v3, v4, v1
	s_cmp_eq_u32 s3, 0
	s_cselect_b32 s0, -1, 0
	s_ashr_i32 s12, s10, 31
	v_fma_f32 v5, -v2, v3, v4
	s_lshr_b32 s12, s12, 29
	v_cndmask_b32_e64 v20, 0, 1, s0
	s_add_i32 s10, s10, s12
	s_delay_alu instid0(VALU_DEP_2) | instskip(SKIP_3) | instid1(VALU_DEP_2)
	v_fmac_f32_e32 v3, v5, v1
	s_ashr_i32 s0, s10, 3
	s_mul_i32 s10, s16, s14
	v_add_nc_u32_e32 v21, s0, v0
	v_fma_f32 v2, -v2, v3, v4
	s_delay_alu instid0(VALU_DEP_1) | instskip(NEXT) | instid1(VALU_DEP_1)
	v_div_fmas_f32 v1, v2, v1, v3
	v_div_fixup_f32 v19, v1, s1, 1.0
	s_delay_alu instid0(VALU_DEP_4)
	v_cmpx_lt_i32_e64 v21, v20
	s_cbranch_execz .LBB2_133
; %bb.3:
	s_load_b32 s1, s[8:9], 0xc
	s_ashr_i32 s22, s0, 31
	v_add_co_u32 v1, s0, s0, v0
	s_delay_alu instid0(VALU_DEP_1)
	v_add_co_ci_u32_e64 v2, null, s22, 0, s0
	s_lshl_b64 s[20:21], s[14:15], 2
	s_lshl_b64 s[12:13], s[10:11], 2
	s_or_b32 s0, s20, 2
	s_mul_i32 s20, s21, s16
	s_mul_i32 s21, s0, s17
	s_mul_hi_u32 s22, s0, s16
	v_lshlrev_b64 v[3:4], 4, v[1:2]
	s_add_i32 s21, s22, s21
	v_lshlrev_b64 v[1:2], 3, v[1:2]
	s_add_i32 s20, s21, s20
	s_mul_i32 s23, s0, s16
	v_mov_b32_e32 v12, 0
	v_add_co_u32 v22, vcc_lo, s6, v3
	s_waitcnt lgkmcnt(0)
	s_and_b32 s21, s1, 0xffff
	v_add_co_ci_u32_e32 v23, vcc_lo, s7, v4, vcc_lo
	s_lshl_b32 s22, s21, 4
	s_add_u32 s0, s4, s10
	s_addc_u32 s1, s5, s11
	v_add_co_u32 v9, vcc_lo, s0, v1
	v_add_co_ci_u32_e32 v10, vcc_lo, s1, v2, vcc_lo
	s_mov_b32 s19, 0
	s_lshl_b32 s24, s21, 3
	s_mov_b32 s25, 0x3fb8aa3b
	s_mov_b32 s26, 0x32a5705f
	;; [unrolled: 1-line block ×3, first 2 shown]
	s_branch .LBB2_5
.LBB2_4:                                ;   in Loop: Header=BB2_5 Depth=1
	s_or_b32 exec_lo, exec_lo, s0
	v_lshlrev_b32_e32 v3, 16, v6
	v_lshlrev_b32_e32 v4, 16, v15
	;; [unrolled: 1-line block ×5, first 2 shown]
	v_and_b32_e32 v3, 0xff0000, v3
	v_perm_b32 v1, v1, v4, 0x4020c0c
	v_and_b32_e32 v4, 0xff, v5
	v_and_b32_e32 v5, 0xff, v13
	;; [unrolled: 1-line block ×3, first 2 shown]
	v_or_b32_e32 v3, v6, v3
	v_and_or_b32 v1, 0xff00, v7, v1
	v_add_nc_u32_e32 v21, s21, v21
	v_add_co_u32 v22, vcc_lo, v22, s22
	s_delay_alu instid0(VALU_DEP_4) | instskip(NEXT) | instid1(VALU_DEP_4)
	v_or3_b32 v2, v3, v2, v4
	v_or_b32_e32 v1, v1, v5
	v_add_co_ci_u32_e32 v23, vcc_lo, 0, v23, vcc_lo
	v_cmp_ge_i32_e32 vcc_lo, v21, v20
	global_store_b64 v[9:10], v[1:2], off
	v_add_co_u32 v9, s0, v9, s24
	s_delay_alu instid0(VALU_DEP_1) | instskip(SKIP_1) | instid1(SALU_CYCLE_1)
	v_add_co_ci_u32_e64 v10, s0, 0, v10, s0
	s_or_b32 s19, vcc_lo, s19
	s_and_not1_b32 exec_lo, exec_lo, s19
	s_cbranch_execz .LBB2_133
.LBB2_5:                                ; =>This Inner Loop Header: Depth=1
	v_add_co_u32 v1, vcc_lo, v22, s12
	v_add_co_ci_u32_e32 v2, vcc_lo, s13, v23, vcc_lo
	s_mov_b32 s0, exec_lo
	global_load_b128 v[5:8], v[1:2], off
	v_add_co_u32 v1, vcc_lo, v22, s23
	v_add_co_ci_u32_e32 v2, vcc_lo, s20, v23, vcc_lo
	global_load_b128 v[1:4], v[1:2], off
	s_waitcnt vmcnt(1)
	v_cvt_f32_f16_e64 v11, -v5
	s_delay_alu instid0(VALU_DEP_1) | instskip(SKIP_1) | instid1(VALU_DEP_2)
	v_mul_f32_e32 v13, 0x3fb8aa3b, v11
	v_cmp_ngt_f32_e32 vcc_lo, 0xc2ce8ed0, v11
	v_fma_mix_f32 v14, -v5, s25, -v13 op_sel_hi:[1,0,0]
	v_rndne_f32_e32 v15, v13
	s_delay_alu instid0(VALU_DEP_2) | instskip(NEXT) | instid1(VALU_DEP_2)
	v_fma_mix_f32 v14, -v5, s26, v14 op_sel_hi:[1,0,0]
	v_sub_f32_e32 v13, v13, v15
	s_delay_alu instid0(VALU_DEP_1) | instskip(SKIP_1) | instid1(VALU_DEP_2)
	v_add_f32_e32 v13, v13, v14
	v_cvt_i32_f32_e32 v14, v15
	v_exp_f32_e32 v13, v13
	s_waitcnt_depctr 0xfff
	v_ldexp_f32 v13, v13, v14
	s_delay_alu instid0(VALU_DEP_1) | instskip(SKIP_1) | instid1(VALU_DEP_2)
	v_cndmask_b32_e32 v13, 0, v13, vcc_lo
	v_cmp_nlt_f32_e32 vcc_lo, 0x42b17218, v11
	v_cndmask_b32_e32 v11, 0x7f800000, v13, vcc_lo
	v_cvt_f32_f16_e32 v13, v5
	s_delay_alu instid0(VALU_DEP_2) | instskip(NEXT) | instid1(VALU_DEP_1)
	v_add_f32_e32 v11, 1.0, v11
	v_div_scale_f32 v14, null, v11, v11, v13
	s_delay_alu instid0(VALU_DEP_1) | instskip(SKIP_2) | instid1(VALU_DEP_1)
	v_rcp_f32_e32 v15, v14
	s_waitcnt_depctr 0xfff
	v_fma_f32 v16, -v14, v15, 1.0
	v_fmac_f32_e32 v15, v16, v15
	v_div_scale_f32 v16, vcc_lo, v13, v11, v13
	s_delay_alu instid0(VALU_DEP_1) | instskip(NEXT) | instid1(VALU_DEP_1)
	v_mul_f32_e32 v17, v16, v15
	v_fma_f32 v18, -v14, v17, v16
	s_delay_alu instid0(VALU_DEP_1) | instskip(NEXT) | instid1(VALU_DEP_1)
	v_dual_fmac_f32 v17, v18, v15 :: v_dual_mov_b32 v18, v12
	v_fma_f32 v14, -v14, v17, v16
	s_delay_alu instid0(VALU_DEP_1) | instskip(NEXT) | instid1(VALU_DEP_1)
	v_div_fmas_f32 v14, v14, v15, v17
	v_div_fixup_f32 v11, v14, v11, v13
	s_delay_alu instid0(VALU_DEP_1) | instskip(SKIP_1) | instid1(VALU_DEP_1)
	v_cvt_f16_f32_e32 v11, v11
	s_waitcnt vmcnt(0)
	v_mul_f16_e32 v11, v1, v11
	s_delay_alu instid0(VALU_DEP_1) | instskip(NEXT) | instid1(VALU_DEP_1)
	v_cvt_f32_f16_e32 v11, v11
	v_mul_f32_e32 v11, v19, v11
	s_delay_alu instid0(VALU_DEP_1) | instskip(NEXT) | instid1(VALU_DEP_1)
	v_minmax_f32 v16, v11, s27, 0xc3e00000
	v_lshrrev_b32_e32 v14, 24, v16
	v_and_b32_e32 v17, 0x7f800000, v16
	v_and_b32_e32 v11, 0x7fffff, v16
	s_delay_alu instid0(VALU_DEP_3) | instskip(NEXT) | instid1(VALU_DEP_1)
	v_and_b32_e32 v15, 0x80, v14
	v_or_b32_e32 v13, 0x7e, v15
	s_delay_alu instid0(VALU_DEP_4)
	v_cmpx_ne_u64_e32 0x7f800000, v[17:18]
	s_xor_b32 s28, exec_lo, s0
	s_cbranch_execz .LBB2_19
; %bb.6:                                ;   in Loop: Header=BB2_5 Depth=1
	v_dual_mov_b32 v18, v12 :: v_dual_and_b32 v17, 0x7fffffff, v16
	s_mov_b32 s0, exec_lo
	s_delay_alu instid0(VALU_DEP_1)
	v_cmpx_gt_u64_e32 0x43e00001, v[17:18]
	s_xor_b32 s29, exec_lo, s0
	s_cbranch_execz .LBB2_18
; %bb.7:                                ;   in Loop: Header=BB2_5 Depth=1
	s_mov_b32 s30, exec_lo
	v_mov_b32_e32 v13, 0
	v_mov_b32_e32 v14, 0
	v_cmpx_ne_u32_e32 0, v16
	s_cbranch_execz .LBB2_17
; %bb.8:                                ;   in Loop: Header=BB2_5 Depth=1
	v_bfe_u32 v18, v16, 23, 8
	s_delay_alu instid0(VALU_DEP_1) | instskip(SKIP_2) | instid1(VALU_DEP_3)
	v_sub_nc_u32_e64 v13, 0x79, v18 clamp
	v_cmp_eq_u32_e32 vcc_lo, 0, v18
	v_add_nc_u32_e32 v18, 0xffffff88, v18
	v_cndmask_b32_e64 v26, v13, 0x78, vcc_lo
	v_or_b32_e32 v13, 0x800000, v11
	s_delay_alu instid0(VALU_DEP_1) | instskip(SKIP_1) | instid1(VALU_DEP_2)
	v_dual_cndmask_b32 v11, v13, v11 :: v_dual_add_nc_u32 v14, 20, v26
	v_add_nc_u32_e32 v16, 19, v26
	v_lshlrev_b64 v[13:14], v14, -1
	s_delay_alu instid0(VALU_DEP_3) | instskip(NEXT) | instid1(VALU_DEP_2)
	v_lshrrev_b64 v[24:25], v26, v[11:12]
	v_not_b32_e32 v17, v14
	s_delay_alu instid0(VALU_DEP_3) | instskip(SKIP_1) | instid1(VALU_DEP_3)
	v_not_b32_e32 v27, v13
	v_lshlrev_b64 v[13:14], v16, 1
	v_and_b32_e32 v17, 0, v17
	s_delay_alu instid0(VALU_DEP_3) | instskip(SKIP_1) | instid1(VALU_DEP_2)
	v_and_b32_e32 v16, v11, v27
	v_and_b32_e32 v11, 0x100000, v24
	v_cmp_eq_u64_e64 s0, v[16:17], v[13:14]
	s_delay_alu instid0(VALU_DEP_2) | instskip(SKIP_2) | instid1(VALU_DEP_3)
	v_cmp_eq_u64_e64 s1, 0, v[11:12]
	v_cndmask_b32_e64 v11, v18, 0xffffff89, vcc_lo
	v_lshrrev_b32_e32 v13, 23, v24
	s_and_b32 vcc_lo, s1, s0
	s_delay_alu instid0(VALU_DEP_1) | instskip(SKIP_2) | instid1(VALU_DEP_2)
	v_add3_u32 v16, v11, v26, v13
	v_subrev_co_ci_u32_e32 v14, vcc_lo, 0, v24, vcc_lo
	s_mov_b32 s0, exec_lo
	v_add_nc_u32_e32 v17, -1, v16
	s_delay_alu instid0(VALU_DEP_2) | instskip(NEXT) | instid1(VALU_DEP_1)
	v_and_b32_e32 v11, 0xfffff, v14
	v_add_co_u32 v13, vcc_lo, v11, v24
	v_add_co_ci_u32_e32 v14, vcc_lo, 0, v25, vcc_lo
                                        ; implicit-def: $vgpr11
	s_delay_alu instid0(VALU_DEP_4)
	v_cmpx_ne_u32_e32 0, v17
	s_xor_b32 s0, exec_lo, s0
; %bb.9:                                ;   in Loop: Header=BB2_5 Depth=1
	s_delay_alu instid0(VALU_DEP_3) | instskip(SKIP_1) | instid1(VALU_DEP_2)
	v_and_b32_e32 v11, 0x1000000, v13
	v_bfe_u32 v18, v13, 24, 1
	v_cmp_eq_u64_e32 vcc_lo, 0, v[11:12]
	s_delay_alu instid0(VALU_DEP_2)
	v_lshrrev_b64 v[13:14], v18, v[13:14]
	v_cndmask_b32_e32 v11, v16, v17, vcc_lo
; %bb.10:                               ;   in Loop: Header=BB2_5 Depth=1
	s_and_not1_saveexec_b32 s0, s0
; %bb.11:                               ;   in Loop: Header=BB2_5 Depth=1
	s_delay_alu instid0(VALU_DEP_2)
	v_bfe_u32 v11, v13, 23, 1
; %bb.12:                               ;   in Loop: Header=BB2_5 Depth=1
	s_or_b32 exec_lo, exec_lo, s0
	s_delay_alu instid0(VALU_DEP_3) | instskip(NEXT) | instid1(VALU_DEP_2)
	v_lshrrev_b64 v[13:14], 20, v[13:14]
	v_cmp_gt_i32_e32 vcc_lo, 16, v11
	v_cmp_ne_u32_e64 s0, 0, v11
	s_delay_alu instid0(VALU_DEP_3) | instskip(NEXT) | instid1(VALU_DEP_1)
	v_dual_cndmask_b32 v17, 0, v14 :: v_dual_cndmask_b32 v16, 7, v13
                                        ; implicit-def: $vgpr13_vgpr14
	v_cmp_ne_u64_e32 vcc_lo, 0, v[16:17]
	s_delay_alu instid0(VALU_DEP_3) | instskip(NEXT) | instid1(SALU_CYCLE_1)
	s_or_b32 s0, s0, vcc_lo
	s_and_saveexec_b32 s1, s0
	s_delay_alu instid0(SALU_CYCLE_1)
	s_xor_b32 s0, exec_lo, s1
; %bb.13:                               ;   in Loop: Header=BB2_5 Depth=1
	v_min_i32_e32 v11, 15, v11
	s_delay_alu instid0(VALU_DEP_1) | instskip(NEXT) | instid1(VALU_DEP_1)
	v_lshl_or_b32 v11, v11, 3, v15
                                        ; implicit-def: $vgpr15
	v_and_or_b32 v13, v16, 7, v11
; %bb.14:                               ;   in Loop: Header=BB2_5 Depth=1
	s_and_not1_saveexec_b32 s0, s0
; %bb.15:                               ;   in Loop: Header=BB2_5 Depth=1
	v_dual_mov_b32 v13, v15 :: v_dual_mov_b32 v14, v16
; %bb.16:                               ;   in Loop: Header=BB2_5 Depth=1
	s_or_b32 exec_lo, exec_lo, s0
.LBB2_17:                               ;   in Loop: Header=BB2_5 Depth=1
	s_delay_alu instid0(SALU_CYCLE_1)
	s_or_b32 exec_lo, exec_lo, s30
.LBB2_18:                               ;   in Loop: Header=BB2_5 Depth=1
	s_and_not1_saveexec_b32 s0, s29
	s_delay_alu instid0(SALU_CYCLE_1)
	s_or_b32 exec_lo, exec_lo, s0
                                        ; implicit-def: $vgpr14
.LBB2_19:                               ;   in Loop: Header=BB2_5 Depth=1
	s_and_not1_saveexec_b32 s0, s28
; %bb.20:                               ;   in Loop: Header=BB2_5 Depth=1
	v_cmp_eq_u64_e32 vcc_lo, 0, v[11:12]
	v_or_b32_e32 v14, 0x7f, v14
	s_delay_alu instid0(VALU_DEP_1)
	v_cndmask_b32_e32 v13, v14, v13, vcc_lo
; %bb.21:                               ;   in Loop: Header=BB2_5 Depth=1
	s_or_b32 exec_lo, exec_lo, s0
	v_lshrrev_b32_e32 v11, 16, v5
	v_lshrrev_b32_e32 v1, 16, v1
	s_mov_b32 s0, exec_lo
	s_delay_alu instid0(VALU_DEP_2) | instskip(SKIP_1) | instid1(VALU_DEP_2)
	v_cvt_f32_f16_e64 v14, -v11
	v_cvt_f32_f16_e32 v11, v11
	v_mul_f32_e32 v15, 0x3fb8aa3b, v14
	v_cmp_ngt_f32_e32 vcc_lo, 0xc2ce8ed0, v14
	s_delay_alu instid0(VALU_DEP_2) | instskip(SKIP_1) | instid1(VALU_DEP_2)
	v_rndne_f32_e32 v16, v15
	v_fma_mix_f32 v17, -v5, s25, -v15 op_sel:[1,0,0] op_sel_hi:[1,0,0]
	v_sub_f32_e32 v15, v15, v16
	s_delay_alu instid0(VALU_DEP_2) | instskip(NEXT) | instid1(VALU_DEP_1)
	v_fma_mix_f32 v5, -v5, s26, v17 op_sel:[1,0,0] op_sel_hi:[1,0,0]
	v_add_f32_e32 v5, v15, v5
	v_cvt_i32_f32_e32 v15, v16
	s_delay_alu instid0(VALU_DEP_2) | instskip(SKIP_2) | instid1(VALU_DEP_1)
	v_exp_f32_e32 v5, v5
	s_waitcnt_depctr 0xfff
	v_ldexp_f32 v5, v5, v15
	v_cndmask_b32_e32 v5, 0, v5, vcc_lo
	v_cmp_nlt_f32_e32 vcc_lo, 0x42b17218, v14
	s_delay_alu instid0(VALU_DEP_2) | instskip(NEXT) | instid1(VALU_DEP_1)
	v_cndmask_b32_e32 v5, 0x7f800000, v5, vcc_lo
	v_add_f32_e32 v5, 1.0, v5
	s_delay_alu instid0(VALU_DEP_1) | instskip(SKIP_1) | instid1(VALU_DEP_2)
	v_div_scale_f32 v14, null, v5, v5, v11
	v_div_scale_f32 v17, vcc_lo, v11, v5, v11
	v_rcp_f32_e32 v15, v14
	s_waitcnt_depctr 0xfff
	v_fma_f32 v16, -v14, v15, 1.0
	s_delay_alu instid0(VALU_DEP_1) | instskip(NEXT) | instid1(VALU_DEP_1)
	v_fmac_f32_e32 v15, v16, v15
	v_mul_f32_e32 v16, v17, v15
	s_delay_alu instid0(VALU_DEP_1) | instskip(NEXT) | instid1(VALU_DEP_1)
	v_fma_f32 v18, -v14, v16, v17
	v_fmac_f32_e32 v16, v18, v15
	s_delay_alu instid0(VALU_DEP_1) | instskip(SKIP_1) | instid1(VALU_DEP_2)
	v_fma_f32 v14, -v14, v16, v17
	v_mov_b32_e32 v17, v12
	v_div_fmas_f32 v14, v14, v15, v16
	s_delay_alu instid0(VALU_DEP_1) | instskip(NEXT) | instid1(VALU_DEP_1)
	v_div_fixup_f32 v5, v14, v5, v11
	v_cvt_f16_f32_e32 v5, v5
	s_delay_alu instid0(VALU_DEP_1) | instskip(NEXT) | instid1(VALU_DEP_1)
	v_mul_f16_e32 v1, v1, v5
	v_cvt_f32_f16_e32 v1, v1
	s_delay_alu instid0(VALU_DEP_1) | instskip(NEXT) | instid1(VALU_DEP_1)
	v_mul_f32_e32 v1, v19, v1
	v_minmax_f32 v5, v1, s27, 0xc3e00000
	s_delay_alu instid0(VALU_DEP_1) | instskip(SKIP_2) | instid1(VALU_DEP_3)
	v_lshrrev_b32_e32 v15, 24, v5
	v_and_b32_e32 v16, 0x7f800000, v5
	v_and_b32_e32 v11, 0x7fffff, v5
	;; [unrolled: 1-line block ×3, first 2 shown]
	s_delay_alu instid0(VALU_DEP_1) | instskip(NEXT) | instid1(VALU_DEP_4)
	v_or_b32_e32 v14, 0x7e, v1
	v_cmpx_ne_u64_e32 0x7f800000, v[16:17]
	s_xor_b32 s28, exec_lo, s0
	s_cbranch_execz .LBB2_35
; %bb.22:                               ;   in Loop: Header=BB2_5 Depth=1
	v_dual_mov_b32 v16, v12 :: v_dual_and_b32 v15, 0x7fffffff, v5
	s_mov_b32 s0, exec_lo
	s_delay_alu instid0(VALU_DEP_1)
	v_cmpx_gt_u64_e32 0x43e00001, v[15:16]
	s_xor_b32 s29, exec_lo, s0
	s_cbranch_execz .LBB2_34
; %bb.23:                               ;   in Loop: Header=BB2_5 Depth=1
	s_mov_b32 s30, exec_lo
	v_mov_b32_e32 v14, 0
	v_mov_b32_e32 v15, 0
	v_cmpx_ne_u32_e32 0, v5
	s_cbranch_execz .LBB2_33
; %bb.24:                               ;   in Loop: Header=BB2_5 Depth=1
	v_bfe_u32 v5, v5, 23, 8
	s_delay_alu instid0(VALU_DEP_1) | instskip(SKIP_2) | instid1(VALU_DEP_3)
	v_sub_nc_u32_e64 v14, 0x79, v5 clamp
	v_cmp_eq_u32_e32 vcc_lo, 0, v5
	v_add_nc_u32_e32 v5, 0xffffff88, v5
	v_cndmask_b32_e64 v18, v14, 0x78, vcc_lo
	v_or_b32_e32 v14, 0x800000, v11
	s_delay_alu instid0(VALU_DEP_3) | instskip(NEXT) | instid1(VALU_DEP_3)
	v_cndmask_b32_e64 v5, v5, 0xffffff89, vcc_lo
	v_add_nc_u32_e32 v15, 20, v18
	s_delay_alu instid0(VALU_DEP_3) | instskip(NEXT) | instid1(VALU_DEP_2)
	v_dual_cndmask_b32 v11, v14, v11 :: v_dual_add_nc_u32 v16, 19, v18
	v_lshlrev_b64 v[14:15], v15, -1
	s_delay_alu instid0(VALU_DEP_2) | instskip(NEXT) | instid1(VALU_DEP_2)
	v_lshrrev_b64 v[24:25], v18, v[11:12]
	v_not_b32_e32 v17, v15
	s_delay_alu instid0(VALU_DEP_3) | instskip(SKIP_1) | instid1(VALU_DEP_3)
	v_not_b32_e32 v26, v14
	v_lshlrev_b64 v[14:15], v16, 1
	v_and_b32_e32 v17, 0, v17
	s_delay_alu instid0(VALU_DEP_3) | instskip(SKIP_1) | instid1(VALU_DEP_2)
	v_and_b32_e32 v16, v11, v26
	v_and_b32_e32 v11, 0x100000, v24
	v_cmp_eq_u64_e64 s0, v[16:17], v[14:15]
	s_delay_alu instid0(VALU_DEP_2) | instskip(SKIP_1) | instid1(VALU_DEP_1)
	v_cmp_eq_u64_e64 s1, 0, v[11:12]
	v_lshrrev_b32_e32 v11, 23, v24
	v_add3_u32 v16, v5, v18, v11
	s_delay_alu instid0(VALU_DEP_3) | instskip(SKIP_2) | instid1(VALU_DEP_2)
	s_and_b32 vcc_lo, s1, s0
	s_mov_b32 s0, exec_lo
	v_subrev_co_ci_u32_e32 v14, vcc_lo, 0, v24, vcc_lo
	v_add_nc_u32_e32 v17, -1, v16
	s_delay_alu instid0(VALU_DEP_2) | instskip(NEXT) | instid1(VALU_DEP_1)
	v_and_b32_e32 v5, 0xfffff, v14
	v_add_co_u32 v14, vcc_lo, v5, v24
	v_add_co_ci_u32_e32 v15, vcc_lo, 0, v25, vcc_lo
                                        ; implicit-def: $vgpr5
	s_delay_alu instid0(VALU_DEP_4)
	v_cmpx_ne_u32_e32 0, v17
	s_xor_b32 s0, exec_lo, s0
; %bb.25:                               ;   in Loop: Header=BB2_5 Depth=1
	s_delay_alu instid0(VALU_DEP_3) | instskip(SKIP_1) | instid1(VALU_DEP_2)
	v_and_b32_e32 v11, 0x1000000, v14
	v_bfe_u32 v5, v14, 24, 1
	v_cmp_eq_u64_e32 vcc_lo, 0, v[11:12]
	s_delay_alu instid0(VALU_DEP_2)
	v_lshrrev_b64 v[14:15], v5, v[14:15]
	v_cndmask_b32_e32 v5, v16, v17, vcc_lo
; %bb.26:                               ;   in Loop: Header=BB2_5 Depth=1
	s_and_not1_saveexec_b32 s0, s0
; %bb.27:                               ;   in Loop: Header=BB2_5 Depth=1
	s_delay_alu instid0(VALU_DEP_2)
	v_bfe_u32 v5, v14, 23, 1
; %bb.28:                               ;   in Loop: Header=BB2_5 Depth=1
	s_or_b32 exec_lo, exec_lo, s0
	s_delay_alu instid0(VALU_DEP_3) | instskip(NEXT) | instid1(VALU_DEP_2)
	v_lshrrev_b64 v[14:15], 20, v[14:15]
	v_cmp_gt_i32_e32 vcc_lo, 16, v5
	v_cmp_ne_u32_e64 s0, 0, v5
	s_delay_alu instid0(VALU_DEP_3) | instskip(NEXT) | instid1(VALU_DEP_1)
	v_dual_cndmask_b32 v17, 0, v15 :: v_dual_cndmask_b32 v16, 7, v14
                                        ; implicit-def: $vgpr14_vgpr15
	v_cmp_ne_u64_e32 vcc_lo, 0, v[16:17]
	s_delay_alu instid0(VALU_DEP_3) | instskip(NEXT) | instid1(SALU_CYCLE_1)
	s_or_b32 s0, s0, vcc_lo
	s_and_saveexec_b32 s1, s0
	s_delay_alu instid0(SALU_CYCLE_1)
	s_xor_b32 s0, exec_lo, s1
; %bb.29:                               ;   in Loop: Header=BB2_5 Depth=1
	v_min_i32_e32 v5, 15, v5
	s_delay_alu instid0(VALU_DEP_1) | instskip(NEXT) | instid1(VALU_DEP_1)
	v_lshl_or_b32 v1, v5, 3, v1
	v_and_or_b32 v14, v16, 7, v1
                                        ; implicit-def: $vgpr1
; %bb.30:                               ;   in Loop: Header=BB2_5 Depth=1
	s_and_not1_saveexec_b32 s0, s0
; %bb.31:                               ;   in Loop: Header=BB2_5 Depth=1
	v_dual_mov_b32 v15, v2 :: v_dual_mov_b32 v14, v1
; %bb.32:                               ;   in Loop: Header=BB2_5 Depth=1
	s_or_b32 exec_lo, exec_lo, s0
.LBB2_33:                               ;   in Loop: Header=BB2_5 Depth=1
	s_delay_alu instid0(SALU_CYCLE_1)
	s_or_b32 exec_lo, exec_lo, s30
.LBB2_34:                               ;   in Loop: Header=BB2_5 Depth=1
	s_and_not1_saveexec_b32 s0, s29
	s_delay_alu instid0(SALU_CYCLE_1)
	s_or_b32 exec_lo, exec_lo, s0
                                        ; implicit-def: $vgpr15
.LBB2_35:                               ;   in Loop: Header=BB2_5 Depth=1
	s_and_not1_saveexec_b32 s0, s28
; %bb.36:                               ;   in Loop: Header=BB2_5 Depth=1
	v_cmp_eq_u64_e32 vcc_lo, 0, v[11:12]
	v_or_b32_e32 v1, 0x7f, v15
	s_delay_alu instid0(VALU_DEP_1)
	v_cndmask_b32_e32 v14, v1, v14, vcc_lo
; %bb.37:                               ;   in Loop: Header=BB2_5 Depth=1
	s_or_b32 exec_lo, exec_lo, s0
	v_cvt_f32_f16_e64 v1, -v6
	s_mov_b32 s0, exec_lo
	s_delay_alu instid0(VALU_DEP_1) | instskip(SKIP_1) | instid1(VALU_DEP_2)
	v_mul_f32_e32 v5, 0x3fb8aa3b, v1
	v_cmp_ngt_f32_e32 vcc_lo, 0xc2ce8ed0, v1
	v_rndne_f32_e32 v11, v5
	v_fma_mix_f32 v15, -v6, s25, -v5 op_sel_hi:[1,0,0]
	s_delay_alu instid0(VALU_DEP_2) | instskip(NEXT) | instid1(VALU_DEP_2)
	v_sub_f32_e32 v5, v5, v11
	v_fma_mix_f32 v15, -v6, s26, v15 op_sel_hi:[1,0,0]
	v_cvt_i32_f32_e32 v11, v11
	s_delay_alu instid0(VALU_DEP_2) | instskip(NEXT) | instid1(VALU_DEP_1)
	v_add_f32_e32 v5, v5, v15
	v_exp_f32_e32 v5, v5
	s_waitcnt_depctr 0xfff
	v_ldexp_f32 v5, v5, v11
	s_delay_alu instid0(VALU_DEP_1) | instskip(SKIP_1) | instid1(VALU_DEP_2)
	v_cndmask_b32_e32 v5, 0, v5, vcc_lo
	v_cmp_nlt_f32_e32 vcc_lo, 0x42b17218, v1
	v_cndmask_b32_e32 v1, 0x7f800000, v5, vcc_lo
	v_cvt_f32_f16_e32 v5, v6
	s_delay_alu instid0(VALU_DEP_2) | instskip(NEXT) | instid1(VALU_DEP_1)
	v_add_f32_e32 v1, 1.0, v1
	v_div_scale_f32 v11, null, v1, v1, v5
	s_delay_alu instid0(VALU_DEP_1) | instskip(SKIP_2) | instid1(VALU_DEP_1)
	v_rcp_f32_e32 v15, v11
	s_waitcnt_depctr 0xfff
	v_fma_f32 v16, -v11, v15, 1.0
	v_fmac_f32_e32 v15, v16, v15
	v_div_scale_f32 v16, vcc_lo, v5, v1, v5
	s_delay_alu instid0(VALU_DEP_1) | instskip(NEXT) | instid1(VALU_DEP_1)
	v_mul_f32_e32 v17, v16, v15
	v_fma_f32 v18, -v11, v17, v16
	s_delay_alu instid0(VALU_DEP_1) | instskip(NEXT) | instid1(VALU_DEP_1)
	v_dual_fmac_f32 v17, v18, v15 :: v_dual_mov_b32 v18, v12
	v_fma_f32 v11, -v11, v17, v16
	s_delay_alu instid0(VALU_DEP_1) | instskip(NEXT) | instid1(VALU_DEP_1)
	v_div_fmas_f32 v11, v11, v15, v17
	v_div_fixup_f32 v1, v11, v1, v5
	s_delay_alu instid0(VALU_DEP_1) | instskip(NEXT) | instid1(VALU_DEP_1)
	v_cvt_f16_f32_e32 v1, v1
	v_mul_f16_e32 v1, v2, v1
	s_delay_alu instid0(VALU_DEP_1) | instskip(NEXT) | instid1(VALU_DEP_1)
	v_cvt_f32_f16_e32 v1, v1
	v_mul_f32_e32 v1, v19, v1
	s_delay_alu instid0(VALU_DEP_1) | instskip(NEXT) | instid1(VALU_DEP_1)
	v_minmax_f32 v5, v1, s27, 0xc3e00000
	v_lshrrev_b32_e32 v16, 24, v5
	v_and_b32_e32 v17, 0x7f800000, v5
	v_and_b32_e32 v11, 0x7fffff, v5
	s_delay_alu instid0(VALU_DEP_3) | instskip(NEXT) | instid1(VALU_DEP_1)
	v_and_b32_e32 v1, 0x80, v16
	v_or_b32_e32 v15, 0x7e, v1
	s_delay_alu instid0(VALU_DEP_4)
	v_cmpx_ne_u64_e32 0x7f800000, v[17:18]
	s_xor_b32 s28, exec_lo, s0
	s_cbranch_execz .LBB2_51
; %bb.38:                               ;   in Loop: Header=BB2_5 Depth=1
	v_dual_mov_b32 v17, v12 :: v_dual_and_b32 v16, 0x7fffffff, v5
	s_mov_b32 s0, exec_lo
	s_delay_alu instid0(VALU_DEP_1)
	v_cmpx_gt_u64_e32 0x43e00001, v[16:17]
	s_xor_b32 s29, exec_lo, s0
	s_cbranch_execz .LBB2_50
; %bb.39:                               ;   in Loop: Header=BB2_5 Depth=1
	s_mov_b32 s30, exec_lo
	v_mov_b32_e32 v15, 0
	v_mov_b32_e32 v16, 0
	v_cmpx_ne_u32_e32 0, v5
	s_cbranch_execz .LBB2_49
; %bb.40:                               ;   in Loop: Header=BB2_5 Depth=1
	v_bfe_u32 v5, v5, 23, 8
	s_delay_alu instid0(VALU_DEP_1) | instskip(SKIP_2) | instid1(VALU_DEP_3)
	v_sub_nc_u32_e64 v15, 0x79, v5 clamp
	v_cmp_eq_u32_e32 vcc_lo, 0, v5
	v_add_nc_u32_e32 v5, 0xffffff88, v5
	v_cndmask_b32_e64 v26, v15, 0x78, vcc_lo
	v_or_b32_e32 v15, 0x800000, v11
	s_delay_alu instid0(VALU_DEP_3) | instskip(NEXT) | instid1(VALU_DEP_2)
	v_cndmask_b32_e64 v5, v5, 0xffffff89, vcc_lo
	v_dual_cndmask_b32 v11, v15, v11 :: v_dual_add_nc_u32 v16, 20, v26
	v_add_nc_u32_e32 v17, 19, v26
	s_delay_alu instid0(VALU_DEP_2) | instskip(NEXT) | instid1(VALU_DEP_3)
	v_lshlrev_b64 v[15:16], v16, -1
	v_lshrrev_b64 v[24:25], v26, v[11:12]
	s_delay_alu instid0(VALU_DEP_2) | instskip(NEXT) | instid1(VALU_DEP_3)
	v_not_b32_e32 v18, v16
	v_not_b32_e32 v27, v15
	v_lshlrev_b64 v[15:16], v17, 1
	s_delay_alu instid0(VALU_DEP_3) | instskip(NEXT) | instid1(VALU_DEP_3)
	v_and_b32_e32 v18, 0, v18
	v_and_b32_e32 v17, v11, v27
	;; [unrolled: 1-line block ×3, first 2 shown]
	s_delay_alu instid0(VALU_DEP_2) | instskip(NEXT) | instid1(VALU_DEP_2)
	v_cmp_eq_u64_e64 s0, v[17:18], v[15:16]
	v_cmp_eq_u64_e64 s1, 0, v[11:12]
	v_lshrrev_b32_e32 v11, 23, v24
	s_delay_alu instid0(VALU_DEP_1) | instskip(NEXT) | instid1(VALU_DEP_3)
	v_add3_u32 v17, v5, v26, v11
	s_and_b32 vcc_lo, s1, s0
	s_mov_b32 s0, exec_lo
	v_subrev_co_ci_u32_e32 v15, vcc_lo, 0, v24, vcc_lo
	s_delay_alu instid0(VALU_DEP_2) | instskip(NEXT) | instid1(VALU_DEP_2)
	v_add_nc_u32_e32 v18, -1, v17
	v_and_b32_e32 v5, 0xfffff, v15
	s_delay_alu instid0(VALU_DEP_1) | instskip(SKIP_1) | instid1(VALU_DEP_4)
	v_add_co_u32 v15, vcc_lo, v5, v24
	v_add_co_ci_u32_e32 v16, vcc_lo, 0, v25, vcc_lo
                                        ; implicit-def: $vgpr5
	v_cmpx_ne_u32_e32 0, v18
	s_xor_b32 s0, exec_lo, s0
; %bb.41:                               ;   in Loop: Header=BB2_5 Depth=1
	s_delay_alu instid0(VALU_DEP_3) | instskip(SKIP_1) | instid1(VALU_DEP_2)
	v_and_b32_e32 v11, 0x1000000, v15
	v_bfe_u32 v5, v15, 24, 1
	v_cmp_eq_u64_e32 vcc_lo, 0, v[11:12]
	s_delay_alu instid0(VALU_DEP_2)
	v_lshrrev_b64 v[15:16], v5, v[15:16]
	v_cndmask_b32_e32 v5, v17, v18, vcc_lo
; %bb.42:                               ;   in Loop: Header=BB2_5 Depth=1
	s_and_not1_saveexec_b32 s0, s0
; %bb.43:                               ;   in Loop: Header=BB2_5 Depth=1
	s_delay_alu instid0(VALU_DEP_2)
	v_bfe_u32 v5, v15, 23, 1
; %bb.44:                               ;   in Loop: Header=BB2_5 Depth=1
	s_or_b32 exec_lo, exec_lo, s0
	s_delay_alu instid0(VALU_DEP_3) | instskip(NEXT) | instid1(VALU_DEP_2)
	v_lshrrev_b64 v[15:16], 20, v[15:16]
	v_cmp_gt_i32_e32 vcc_lo, 16, v5
	v_cmp_ne_u32_e64 s0, 0, v5
	s_delay_alu instid0(VALU_DEP_3) | instskip(NEXT) | instid1(VALU_DEP_1)
	v_dual_cndmask_b32 v18, 0, v16 :: v_dual_cndmask_b32 v17, 7, v15
                                        ; implicit-def: $vgpr15_vgpr16
	v_cmp_ne_u64_e32 vcc_lo, 0, v[17:18]
	s_delay_alu instid0(VALU_DEP_3) | instskip(NEXT) | instid1(SALU_CYCLE_1)
	s_or_b32 s0, s0, vcc_lo
	s_and_saveexec_b32 s1, s0
	s_delay_alu instid0(SALU_CYCLE_1)
	s_xor_b32 s0, exec_lo, s1
; %bb.45:                               ;   in Loop: Header=BB2_5 Depth=1
	v_min_i32_e32 v5, 15, v5
	s_delay_alu instid0(VALU_DEP_1) | instskip(NEXT) | instid1(VALU_DEP_1)
	v_lshl_or_b32 v1, v5, 3, v1
	v_and_or_b32 v15, v17, 7, v1
                                        ; implicit-def: $vgpr1
; %bb.46:                               ;   in Loop: Header=BB2_5 Depth=1
	s_and_not1_saveexec_b32 s0, s0
; %bb.47:                               ;   in Loop: Header=BB2_5 Depth=1
	v_dual_mov_b32 v16, v2 :: v_dual_mov_b32 v15, v1
; %bb.48:                               ;   in Loop: Header=BB2_5 Depth=1
	s_or_b32 exec_lo, exec_lo, s0
.LBB2_49:                               ;   in Loop: Header=BB2_5 Depth=1
	s_delay_alu instid0(SALU_CYCLE_1)
	s_or_b32 exec_lo, exec_lo, s30
.LBB2_50:                               ;   in Loop: Header=BB2_5 Depth=1
	s_and_not1_saveexec_b32 s0, s29
	s_delay_alu instid0(SALU_CYCLE_1)
	s_or_b32 exec_lo, exec_lo, s0
                                        ; implicit-def: $vgpr16
.LBB2_51:                               ;   in Loop: Header=BB2_5 Depth=1
	s_and_not1_saveexec_b32 s0, s28
; %bb.52:                               ;   in Loop: Header=BB2_5 Depth=1
	v_cmp_eq_u64_e32 vcc_lo, 0, v[11:12]
	v_or_b32_e32 v1, 0x7f, v16
	s_delay_alu instid0(VALU_DEP_1)
	v_cndmask_b32_e32 v15, v1, v15, vcc_lo
; %bb.53:                               ;   in Loop: Header=BB2_5 Depth=1
	s_or_b32 exec_lo, exec_lo, s0
	v_lshrrev_b32_e32 v1, 16, v6
	v_lshrrev_b32_e32 v2, 16, v2
	s_mov_b32 s0, exec_lo
	s_delay_alu instid0(VALU_DEP_2) | instskip(SKIP_1) | instid1(VALU_DEP_2)
	v_cvt_f32_f16_e64 v5, -v1
	v_cvt_f32_f16_e32 v1, v1
	v_cmp_ngt_f32_e32 vcc_lo, 0xc2ce8ed0, v5
	v_mul_f32_e32 v11, 0x3fb8aa3b, v5
	s_delay_alu instid0(VALU_DEP_1) | instskip(SKIP_1) | instid1(VALU_DEP_2)
	v_rndne_f32_e32 v16, v11
	v_fma_mix_f32 v17, -v6, s25, -v11 op_sel:[1,0,0] op_sel_hi:[1,0,0]
	v_sub_f32_e32 v11, v11, v16
	s_delay_alu instid0(VALU_DEP_2) | instskip(NEXT) | instid1(VALU_DEP_1)
	v_fma_mix_f32 v6, -v6, s26, v17 op_sel:[1,0,0] op_sel_hi:[1,0,0]
	v_add_f32_e32 v6, v11, v6
	v_cvt_i32_f32_e32 v11, v16
	s_delay_alu instid0(VALU_DEP_2) | instskip(SKIP_2) | instid1(VALU_DEP_1)
	v_exp_f32_e32 v6, v6
	s_waitcnt_depctr 0xfff
	v_ldexp_f32 v6, v6, v11
	v_cndmask_b32_e32 v6, 0, v6, vcc_lo
	v_cmp_nlt_f32_e32 vcc_lo, 0x42b17218, v5
	s_delay_alu instid0(VALU_DEP_2) | instskip(NEXT) | instid1(VALU_DEP_1)
	v_cndmask_b32_e32 v5, 0x7f800000, v6, vcc_lo
	v_add_f32_e32 v5, 1.0, v5
	s_delay_alu instid0(VALU_DEP_1) | instskip(SKIP_1) | instid1(VALU_DEP_2)
	v_div_scale_f32 v6, null, v5, v5, v1
	v_div_scale_f32 v17, vcc_lo, v1, v5, v1
	v_rcp_f32_e32 v11, v6
	s_waitcnt_depctr 0xfff
	v_fma_f32 v16, -v6, v11, 1.0
	s_delay_alu instid0(VALU_DEP_1) | instskip(NEXT) | instid1(VALU_DEP_1)
	v_fmac_f32_e32 v11, v16, v11
	v_mul_f32_e32 v16, v17, v11
	s_delay_alu instid0(VALU_DEP_1) | instskip(NEXT) | instid1(VALU_DEP_1)
	v_fma_f32 v18, -v6, v16, v17
	v_fmac_f32_e32 v16, v18, v11
	s_delay_alu instid0(VALU_DEP_1) | instskip(SKIP_1) | instid1(VALU_DEP_2)
	v_fma_f32 v6, -v6, v16, v17
	v_mov_b32_e32 v17, v12
	v_div_fmas_f32 v6, v6, v11, v16
	s_delay_alu instid0(VALU_DEP_1) | instskip(NEXT) | instid1(VALU_DEP_1)
	v_div_fixup_f32 v1, v6, v5, v1
	v_cvt_f16_f32_e32 v1, v1
	s_delay_alu instid0(VALU_DEP_1) | instskip(NEXT) | instid1(VALU_DEP_1)
	v_mul_f16_e32 v1, v2, v1
	v_cvt_f32_f16_e32 v1, v1
	s_delay_alu instid0(VALU_DEP_1) | instskip(NEXT) | instid1(VALU_DEP_1)
	v_mul_f32_e32 v1, v19, v1
	v_minmax_f32 v6, v1, s27, 0xc3e00000
	s_delay_alu instid0(VALU_DEP_1) | instskip(SKIP_2) | instid1(VALU_DEP_3)
	v_lshrrev_b32_e32 v2, 24, v6
	v_and_b32_e32 v16, 0x7f800000, v6
	v_and_b32_e32 v11, 0x7fffff, v6
	;; [unrolled: 1-line block ×3, first 2 shown]
	s_delay_alu instid0(VALU_DEP_1) | instskip(NEXT) | instid1(VALU_DEP_4)
	v_or_b32_e32 v1, 0x7e, v5
	v_cmpx_ne_u64_e32 0x7f800000, v[16:17]
	s_xor_b32 s28, exec_lo, s0
	s_cbranch_execz .LBB2_67
; %bb.54:                               ;   in Loop: Header=BB2_5 Depth=1
	v_dual_mov_b32 v17, v12 :: v_dual_and_b32 v16, 0x7fffffff, v6
	s_mov_b32 s0, exec_lo
	s_delay_alu instid0(VALU_DEP_1)
	v_cmpx_gt_u64_e32 0x43e00001, v[16:17]
	s_xor_b32 s29, exec_lo, s0
	s_cbranch_execz .LBB2_66
; %bb.55:                               ;   in Loop: Header=BB2_5 Depth=1
	s_mov_b32 s30, exec_lo
	v_mov_b32_e32 v1, 0
	v_mov_b32_e32 v2, 0
	v_cmpx_ne_u32_e32 0, v6
	s_cbranch_execz .LBB2_65
; %bb.56:                               ;   in Loop: Header=BB2_5 Depth=1
	v_bfe_u32 v6, v6, 23, 8
	s_delay_alu instid0(VALU_DEP_1) | instskip(SKIP_2) | instid1(VALU_DEP_3)
	v_sub_nc_u32_e64 v1, 0x79, v6 clamp
	v_cmp_eq_u32_e32 vcc_lo, 0, v6
	v_add_nc_u32_e32 v6, 0xffffff88, v6
	v_cndmask_b32_e64 v18, v1, 0x78, vcc_lo
	v_or_b32_e32 v1, 0x800000, v11
	s_delay_alu instid0(VALU_DEP_1) | instskip(SKIP_1) | instid1(VALU_DEP_2)
	v_dual_cndmask_b32 v11, v1, v11 :: v_dual_add_nc_u32 v2, 20, v18
	v_add_nc_u32_e32 v16, 19, v18
	v_lshlrev_b64 v[1:2], v2, -1
	s_delay_alu instid0(VALU_DEP_3) | instskip(NEXT) | instid1(VALU_DEP_2)
	v_lshrrev_b64 v[24:25], v18, v[11:12]
	v_not_b32_e32 v17, v2
	s_delay_alu instid0(VALU_DEP_3) | instskip(SKIP_1) | instid1(VALU_DEP_3)
	v_not_b32_e32 v26, v1
	v_lshlrev_b64 v[1:2], v16, 1
	v_and_b32_e32 v17, 0, v17
	s_delay_alu instid0(VALU_DEP_3) | instskip(SKIP_1) | instid1(VALU_DEP_2)
	v_and_b32_e32 v16, v11, v26
	v_and_b32_e32 v11, 0x100000, v24
	v_cmp_eq_u64_e64 s0, v[16:17], v[1:2]
	s_delay_alu instid0(VALU_DEP_2) | instskip(SKIP_2) | instid1(VALU_DEP_3)
	v_cmp_eq_u64_e64 s1, 0, v[11:12]
	v_cndmask_b32_e64 v1, v6, 0xffffff89, vcc_lo
	v_lshrrev_b32_e32 v2, 23, v24
	s_and_b32 vcc_lo, s1, s0
	s_delay_alu instid0(VALU_DEP_1) | instskip(SKIP_2) | instid1(VALU_DEP_2)
	v_add3_u32 v16, v1, v18, v2
	v_subrev_co_ci_u32_e32 v6, vcc_lo, 0, v24, vcc_lo
	s_mov_b32 s0, exec_lo
	v_add_nc_u32_e32 v17, -1, v16
	s_delay_alu instid0(VALU_DEP_2) | instskip(NEXT) | instid1(VALU_DEP_1)
	v_and_b32_e32 v1, 0xfffff, v6
                                        ; implicit-def: $vgpr6
	v_add_co_u32 v1, vcc_lo, v1, v24
	v_add_co_ci_u32_e32 v2, vcc_lo, 0, v25, vcc_lo
	s_delay_alu instid0(VALU_DEP_4)
	v_cmpx_ne_u32_e32 0, v17
	s_xor_b32 s0, exec_lo, s0
; %bb.57:                               ;   in Loop: Header=BB2_5 Depth=1
	s_delay_alu instid0(VALU_DEP_3) | instskip(SKIP_1) | instid1(VALU_DEP_2)
	v_and_b32_e32 v11, 0x1000000, v1
	v_bfe_u32 v6, v1, 24, 1
	v_cmp_eq_u64_e32 vcc_lo, 0, v[11:12]
	s_delay_alu instid0(VALU_DEP_2)
	v_lshrrev_b64 v[1:2], v6, v[1:2]
	v_cndmask_b32_e32 v6, v16, v17, vcc_lo
; %bb.58:                               ;   in Loop: Header=BB2_5 Depth=1
	s_and_not1_saveexec_b32 s0, s0
; %bb.59:                               ;   in Loop: Header=BB2_5 Depth=1
	s_delay_alu instid0(VALU_DEP_2)
	v_bfe_u32 v6, v1, 23, 1
; %bb.60:                               ;   in Loop: Header=BB2_5 Depth=1
	s_or_b32 exec_lo, exec_lo, s0
	s_delay_alu instid0(VALU_DEP_3) | instskip(NEXT) | instid1(VALU_DEP_2)
	v_lshrrev_b64 v[1:2], 20, v[1:2]
	v_cmp_gt_i32_e32 vcc_lo, 16, v6
	v_cmp_ne_u32_e64 s0, 0, v6
	s_delay_alu instid0(VALU_DEP_3) | instskip(NEXT) | instid1(VALU_DEP_1)
	v_dual_cndmask_b32 v17, 0, v2 :: v_dual_cndmask_b32 v16, 7, v1
                                        ; implicit-def: $vgpr1_vgpr2
	v_cmp_ne_u64_e32 vcc_lo, 0, v[16:17]
	s_delay_alu instid0(VALU_DEP_3) | instskip(NEXT) | instid1(SALU_CYCLE_1)
	s_or_b32 s0, s0, vcc_lo
	s_and_saveexec_b32 s1, s0
	s_delay_alu instid0(SALU_CYCLE_1)
	s_xor_b32 s0, exec_lo, s1
; %bb.61:                               ;   in Loop: Header=BB2_5 Depth=1
	v_min_i32_e32 v1, 15, v6
	s_delay_alu instid0(VALU_DEP_1) | instskip(NEXT) | instid1(VALU_DEP_1)
	v_lshl_or_b32 v1, v1, 3, v5
                                        ; implicit-def: $vgpr5
	v_and_or_b32 v1, v16, 7, v1
; %bb.62:                               ;   in Loop: Header=BB2_5 Depth=1
	s_and_not1_saveexec_b32 s0, s0
; %bb.63:                               ;   in Loop: Header=BB2_5 Depth=1
	v_dual_mov_b32 v1, v5 :: v_dual_mov_b32 v2, v6
; %bb.64:                               ;   in Loop: Header=BB2_5 Depth=1
	s_or_b32 exec_lo, exec_lo, s0
.LBB2_65:                               ;   in Loop: Header=BB2_5 Depth=1
	s_delay_alu instid0(SALU_CYCLE_1)
	s_or_b32 exec_lo, exec_lo, s30
.LBB2_66:                               ;   in Loop: Header=BB2_5 Depth=1
	s_and_not1_saveexec_b32 s0, s29
	s_delay_alu instid0(SALU_CYCLE_1)
	s_or_b32 exec_lo, exec_lo, s0
                                        ; implicit-def: $vgpr2
.LBB2_67:                               ;   in Loop: Header=BB2_5 Depth=1
	s_and_not1_saveexec_b32 s0, s28
; %bb.68:                               ;   in Loop: Header=BB2_5 Depth=1
	v_cmp_eq_u64_e32 vcc_lo, 0, v[11:12]
	v_or_b32_e32 v2, 0x7f, v2
	s_delay_alu instid0(VALU_DEP_1)
	v_cndmask_b32_e32 v1, v2, v1, vcc_lo
; %bb.69:                               ;   in Loop: Header=BB2_5 Depth=1
	s_or_b32 exec_lo, exec_lo, s0
	v_cvt_f32_f16_e64 v2, -v7
	s_mov_b32 s0, exec_lo
	s_delay_alu instid0(VALU_DEP_1) | instskip(SKIP_1) | instid1(VALU_DEP_2)
	v_mul_f32_e32 v5, 0x3fb8aa3b, v2
	v_cmp_ngt_f32_e32 vcc_lo, 0xc2ce8ed0, v2
	v_rndne_f32_e32 v6, v5
	v_fma_mix_f32 v11, -v7, s25, -v5 op_sel_hi:[1,0,0]
	s_delay_alu instid0(VALU_DEP_2) | instskip(NEXT) | instid1(VALU_DEP_2)
	v_sub_f32_e32 v5, v5, v6
	v_fma_mix_f32 v11, -v7, s26, v11 op_sel_hi:[1,0,0]
	v_cvt_i32_f32_e32 v6, v6
	s_delay_alu instid0(VALU_DEP_2) | instskip(NEXT) | instid1(VALU_DEP_1)
	v_add_f32_e32 v5, v5, v11
	v_exp_f32_e32 v5, v5
	s_waitcnt_depctr 0xfff
	v_ldexp_f32 v5, v5, v6
	s_delay_alu instid0(VALU_DEP_1) | instskip(SKIP_1) | instid1(VALU_DEP_2)
	v_cndmask_b32_e32 v5, 0, v5, vcc_lo
	v_cmp_nlt_f32_e32 vcc_lo, 0x42b17218, v2
	v_cndmask_b32_e32 v2, 0x7f800000, v5, vcc_lo
	v_cvt_f32_f16_e32 v5, v7
	s_delay_alu instid0(VALU_DEP_2) | instskip(NEXT) | instid1(VALU_DEP_1)
	v_add_f32_e32 v2, 1.0, v2
	v_div_scale_f32 v6, null, v2, v2, v5
	s_delay_alu instid0(VALU_DEP_1) | instskip(SKIP_2) | instid1(VALU_DEP_1)
	v_rcp_f32_e32 v11, v6
	s_waitcnt_depctr 0xfff
	v_fma_f32 v16, -v6, v11, 1.0
	v_fmac_f32_e32 v11, v16, v11
	v_div_scale_f32 v16, vcc_lo, v5, v2, v5
	s_delay_alu instid0(VALU_DEP_1) | instskip(NEXT) | instid1(VALU_DEP_1)
	v_mul_f32_e32 v17, v16, v11
	v_fma_f32 v18, -v6, v17, v16
	s_delay_alu instid0(VALU_DEP_1) | instskip(NEXT) | instid1(VALU_DEP_1)
	v_dual_fmac_f32 v17, v18, v11 :: v_dual_mov_b32 v18, v12
	v_fma_f32 v6, -v6, v17, v16
	s_delay_alu instid0(VALU_DEP_1) | instskip(NEXT) | instid1(VALU_DEP_1)
	v_div_fmas_f32 v6, v6, v11, v17
	v_div_fixup_f32 v2, v6, v2, v5
	s_delay_alu instid0(VALU_DEP_1) | instskip(NEXT) | instid1(VALU_DEP_1)
	v_cvt_f16_f32_e32 v2, v2
	v_mul_f16_e32 v2, v3, v2
	s_delay_alu instid0(VALU_DEP_1) | instskip(NEXT) | instid1(VALU_DEP_1)
	v_cvt_f32_f16_e32 v2, v2
	v_mul_f32_e32 v2, v19, v2
	s_delay_alu instid0(VALU_DEP_1) | instskip(NEXT) | instid1(VALU_DEP_1)
	v_minmax_f32 v16, v2, s27, 0xc3e00000
	v_lshrrev_b32_e32 v6, 24, v16
	v_and_b32_e32 v17, 0x7f800000, v16
	v_and_b32_e32 v11, 0x7fffff, v16
	s_delay_alu instid0(VALU_DEP_3) | instskip(NEXT) | instid1(VALU_DEP_1)
	v_and_b32_e32 v2, 0x80, v6
	v_or_b32_e32 v5, 0x7e, v2
	s_delay_alu instid0(VALU_DEP_4)
	v_cmpx_ne_u64_e32 0x7f800000, v[17:18]
	s_xor_b32 s28, exec_lo, s0
	s_cbranch_execz .LBB2_83
; %bb.70:                               ;   in Loop: Header=BB2_5 Depth=1
	v_dual_mov_b32 v18, v12 :: v_dual_and_b32 v17, 0x7fffffff, v16
	s_mov_b32 s0, exec_lo
	s_delay_alu instid0(VALU_DEP_1)
	v_cmpx_gt_u64_e32 0x43e00001, v[17:18]
	s_xor_b32 s29, exec_lo, s0
	s_cbranch_execz .LBB2_82
; %bb.71:                               ;   in Loop: Header=BB2_5 Depth=1
	s_mov_b32 s30, exec_lo
	v_mov_b32_e32 v5, 0
	v_mov_b32_e32 v6, 0
	v_cmpx_ne_u32_e32 0, v16
	s_cbranch_execz .LBB2_81
; %bb.72:                               ;   in Loop: Header=BB2_5 Depth=1
	v_bfe_u32 v18, v16, 23, 8
	s_delay_alu instid0(VALU_DEP_1) | instskip(SKIP_2) | instid1(VALU_DEP_3)
	v_sub_nc_u32_e64 v5, 0x79, v18 clamp
	v_cmp_eq_u32_e32 vcc_lo, 0, v18
	v_add_nc_u32_e32 v18, 0xffffff88, v18
	v_cndmask_b32_e64 v26, v5, 0x78, vcc_lo
	v_or_b32_e32 v5, 0x800000, v11
	s_delay_alu instid0(VALU_DEP_1) | instskip(SKIP_1) | instid1(VALU_DEP_2)
	v_dual_cndmask_b32 v11, v5, v11 :: v_dual_add_nc_u32 v6, 20, v26
	v_add_nc_u32_e32 v16, 19, v26
	v_lshlrev_b64 v[5:6], v6, -1
	s_delay_alu instid0(VALU_DEP_3) | instskip(NEXT) | instid1(VALU_DEP_2)
	v_lshrrev_b64 v[24:25], v26, v[11:12]
	v_not_b32_e32 v17, v6
	s_delay_alu instid0(VALU_DEP_3) | instskip(SKIP_1) | instid1(VALU_DEP_3)
	v_not_b32_e32 v27, v5
	v_lshlrev_b64 v[5:6], v16, 1
	v_and_b32_e32 v17, 0, v17
	s_delay_alu instid0(VALU_DEP_3) | instskip(SKIP_1) | instid1(VALU_DEP_2)
	v_and_b32_e32 v16, v11, v27
	v_and_b32_e32 v11, 0x100000, v24
	v_cmp_eq_u64_e64 s0, v[16:17], v[5:6]
	s_delay_alu instid0(VALU_DEP_2) | instskip(SKIP_2) | instid1(VALU_DEP_3)
	v_cmp_eq_u64_e64 s1, 0, v[11:12]
	v_cndmask_b32_e64 v5, v18, 0xffffff89, vcc_lo
	v_lshrrev_b32_e32 v6, 23, v24
	s_and_b32 vcc_lo, s1, s0
	s_delay_alu instid0(VALU_DEP_1) | instskip(SKIP_2) | instid1(VALU_DEP_2)
	v_add3_u32 v16, v5, v26, v6
	v_subrev_co_ci_u32_e32 v11, vcc_lo, 0, v24, vcc_lo
	s_mov_b32 s0, exec_lo
	v_add_nc_u32_e32 v17, -1, v16
	s_delay_alu instid0(VALU_DEP_2) | instskip(NEXT) | instid1(VALU_DEP_1)
	v_and_b32_e32 v5, 0xfffff, v11
                                        ; implicit-def: $vgpr11
	v_add_co_u32 v5, vcc_lo, v5, v24
	v_add_co_ci_u32_e32 v6, vcc_lo, 0, v25, vcc_lo
	s_delay_alu instid0(VALU_DEP_4)
	v_cmpx_ne_u32_e32 0, v17
	s_xor_b32 s0, exec_lo, s0
; %bb.73:                               ;   in Loop: Header=BB2_5 Depth=1
	s_delay_alu instid0(VALU_DEP_3) | instskip(SKIP_1) | instid1(VALU_DEP_2)
	v_and_b32_e32 v11, 0x1000000, v5
	v_bfe_u32 v18, v5, 24, 1
	v_cmp_eq_u64_e32 vcc_lo, 0, v[11:12]
	s_delay_alu instid0(VALU_DEP_2)
	v_lshrrev_b64 v[5:6], v18, v[5:6]
	v_cndmask_b32_e32 v11, v16, v17, vcc_lo
; %bb.74:                               ;   in Loop: Header=BB2_5 Depth=1
	s_and_not1_saveexec_b32 s0, s0
; %bb.75:                               ;   in Loop: Header=BB2_5 Depth=1
	s_delay_alu instid0(VALU_DEP_2)
	v_bfe_u32 v11, v5, 23, 1
; %bb.76:                               ;   in Loop: Header=BB2_5 Depth=1
	s_or_b32 exec_lo, exec_lo, s0
	s_delay_alu instid0(VALU_DEP_3) | instskip(NEXT) | instid1(VALU_DEP_2)
	v_lshrrev_b64 v[5:6], 20, v[5:6]
	v_cmp_gt_i32_e32 vcc_lo, 16, v11
	v_cmp_ne_u32_e64 s0, 0, v11
	s_delay_alu instid0(VALU_DEP_3) | instskip(NEXT) | instid1(VALU_DEP_1)
	v_dual_cndmask_b32 v17, 0, v6 :: v_dual_cndmask_b32 v16, 7, v5
                                        ; implicit-def: $vgpr5_vgpr6
	v_cmp_ne_u64_e32 vcc_lo, 0, v[16:17]
	s_delay_alu instid0(VALU_DEP_3) | instskip(NEXT) | instid1(SALU_CYCLE_1)
	s_or_b32 s0, s0, vcc_lo
	s_and_saveexec_b32 s1, s0
	s_delay_alu instid0(SALU_CYCLE_1)
	s_xor_b32 s0, exec_lo, s1
; %bb.77:                               ;   in Loop: Header=BB2_5 Depth=1
	v_min_i32_e32 v5, 15, v11
	s_delay_alu instid0(VALU_DEP_1) | instskip(NEXT) | instid1(VALU_DEP_1)
	v_lshl_or_b32 v2, v5, 3, v2
	v_and_or_b32 v5, v16, 7, v2
                                        ; implicit-def: $vgpr2
; %bb.78:                               ;   in Loop: Header=BB2_5 Depth=1
	s_and_not1_saveexec_b32 s0, s0
; %bb.79:                               ;   in Loop: Header=BB2_5 Depth=1
	v_dual_mov_b32 v6, v3 :: v_dual_mov_b32 v5, v2
; %bb.80:                               ;   in Loop: Header=BB2_5 Depth=1
	s_or_b32 exec_lo, exec_lo, s0
.LBB2_81:                               ;   in Loop: Header=BB2_5 Depth=1
	s_delay_alu instid0(SALU_CYCLE_1)
	s_or_b32 exec_lo, exec_lo, s30
.LBB2_82:                               ;   in Loop: Header=BB2_5 Depth=1
	s_and_not1_saveexec_b32 s0, s29
	s_delay_alu instid0(SALU_CYCLE_1)
	s_or_b32 exec_lo, exec_lo, s0
                                        ; implicit-def: $vgpr6
.LBB2_83:                               ;   in Loop: Header=BB2_5 Depth=1
	s_and_not1_saveexec_b32 s0, s28
; %bb.84:                               ;   in Loop: Header=BB2_5 Depth=1
	v_cmp_eq_u64_e32 vcc_lo, 0, v[11:12]
	v_or_b32_e32 v2, 0x7f, v6
	s_delay_alu instid0(VALU_DEP_1)
	v_cndmask_b32_e32 v5, v2, v5, vcc_lo
; %bb.85:                               ;   in Loop: Header=BB2_5 Depth=1
	s_or_b32 exec_lo, exec_lo, s0
	v_lshrrev_b32_e32 v2, 16, v7
	v_lshrrev_b32_e32 v3, 16, v3
	s_mov_b32 s0, exec_lo
	s_delay_alu instid0(VALU_DEP_2) | instskip(SKIP_1) | instid1(VALU_DEP_2)
	v_cvt_f32_f16_e64 v6, -v2
	v_cvt_f32_f16_e32 v2, v2
	v_mul_f32_e32 v11, 0x3fb8aa3b, v6
	v_cmp_ngt_f32_e32 vcc_lo, 0xc2ce8ed0, v6
	s_delay_alu instid0(VALU_DEP_2) | instskip(SKIP_1) | instid1(VALU_DEP_2)
	v_rndne_f32_e32 v16, v11
	v_fma_mix_f32 v17, -v7, s25, -v11 op_sel:[1,0,0] op_sel_hi:[1,0,0]
	v_sub_f32_e32 v11, v11, v16
	s_delay_alu instid0(VALU_DEP_2) | instskip(NEXT) | instid1(VALU_DEP_1)
	v_fma_mix_f32 v7, -v7, s26, v17 op_sel:[1,0,0] op_sel_hi:[1,0,0]
	v_add_f32_e32 v7, v11, v7
	v_cvt_i32_f32_e32 v11, v16
	s_delay_alu instid0(VALU_DEP_2) | instskip(SKIP_2) | instid1(VALU_DEP_1)
	v_exp_f32_e32 v7, v7
	s_waitcnt_depctr 0xfff
	v_ldexp_f32 v7, v7, v11
	v_cndmask_b32_e32 v7, 0, v7, vcc_lo
	v_cmp_nlt_f32_e32 vcc_lo, 0x42b17218, v6
	s_delay_alu instid0(VALU_DEP_2) | instskip(NEXT) | instid1(VALU_DEP_1)
	v_cndmask_b32_e32 v6, 0x7f800000, v7, vcc_lo
	v_add_f32_e32 v6, 1.0, v6
	s_delay_alu instid0(VALU_DEP_1) | instskip(SKIP_1) | instid1(VALU_DEP_2)
	v_div_scale_f32 v7, null, v6, v6, v2
	v_div_scale_f32 v17, vcc_lo, v2, v6, v2
	v_rcp_f32_e32 v11, v7
	s_waitcnt_depctr 0xfff
	v_fma_f32 v16, -v7, v11, 1.0
	s_delay_alu instid0(VALU_DEP_1) | instskip(NEXT) | instid1(VALU_DEP_1)
	v_fmac_f32_e32 v11, v16, v11
	v_mul_f32_e32 v16, v17, v11
	s_delay_alu instid0(VALU_DEP_1) | instskip(NEXT) | instid1(VALU_DEP_1)
	v_fma_f32 v18, -v7, v16, v17
	v_fmac_f32_e32 v16, v18, v11
	s_delay_alu instid0(VALU_DEP_1) | instskip(SKIP_1) | instid1(VALU_DEP_2)
	v_fma_f32 v7, -v7, v16, v17
	v_mov_b32_e32 v17, v12
	v_div_fmas_f32 v7, v7, v11, v16
	s_delay_alu instid0(VALU_DEP_1) | instskip(NEXT) | instid1(VALU_DEP_1)
	v_div_fixup_f32 v2, v7, v6, v2
	v_cvt_f16_f32_e32 v2, v2
	s_delay_alu instid0(VALU_DEP_1) | instskip(NEXT) | instid1(VALU_DEP_1)
	v_mul_f16_e32 v2, v3, v2
	v_cvt_f32_f16_e32 v2, v2
	s_delay_alu instid0(VALU_DEP_1) | instskip(NEXT) | instid1(VALU_DEP_1)
	v_mul_f32_e32 v2, v19, v2
	v_minmax_f32 v7, v2, s27, 0xc3e00000
	s_delay_alu instid0(VALU_DEP_1) | instskip(SKIP_2) | instid1(VALU_DEP_3)
	v_lshrrev_b32_e32 v3, 24, v7
	v_and_b32_e32 v16, 0x7f800000, v7
	v_and_b32_e32 v11, 0x7fffff, v7
	;; [unrolled: 1-line block ×3, first 2 shown]
	s_delay_alu instid0(VALU_DEP_1) | instskip(NEXT) | instid1(VALU_DEP_4)
	v_or_b32_e32 v2, 0x7e, v6
	v_cmpx_ne_u64_e32 0x7f800000, v[16:17]
	s_xor_b32 s28, exec_lo, s0
	s_cbranch_execz .LBB2_99
; %bb.86:                               ;   in Loop: Header=BB2_5 Depth=1
	v_dual_mov_b32 v17, v12 :: v_dual_and_b32 v16, 0x7fffffff, v7
	s_mov_b32 s0, exec_lo
	s_delay_alu instid0(VALU_DEP_1)
	v_cmpx_gt_u64_e32 0x43e00001, v[16:17]
	s_xor_b32 s29, exec_lo, s0
	s_cbranch_execz .LBB2_98
; %bb.87:                               ;   in Loop: Header=BB2_5 Depth=1
	s_mov_b32 s30, exec_lo
	v_mov_b32_e32 v2, 0
	v_mov_b32_e32 v3, 0
	v_cmpx_ne_u32_e32 0, v7
	s_cbranch_execz .LBB2_97
; %bb.88:                               ;   in Loop: Header=BB2_5 Depth=1
	v_bfe_u32 v7, v7, 23, 8
	s_delay_alu instid0(VALU_DEP_1) | instskip(SKIP_2) | instid1(VALU_DEP_3)
	v_sub_nc_u32_e64 v2, 0x79, v7 clamp
	v_cmp_eq_u32_e32 vcc_lo, 0, v7
	v_add_nc_u32_e32 v7, 0xffffff88, v7
	v_cndmask_b32_e64 v18, v2, 0x78, vcc_lo
	v_or_b32_e32 v2, 0x800000, v11
	s_delay_alu instid0(VALU_DEP_2) | instskip(NEXT) | instid1(VALU_DEP_2)
	v_add_nc_u32_e32 v3, 20, v18
	v_dual_cndmask_b32 v11, v2, v11 :: v_dual_add_nc_u32 v16, 19, v18
	s_delay_alu instid0(VALU_DEP_2) | instskip(NEXT) | instid1(VALU_DEP_2)
	v_lshlrev_b64 v[2:3], v3, -1
	v_lshrrev_b64 v[24:25], v18, v[11:12]
	s_delay_alu instid0(VALU_DEP_2) | instskip(NEXT) | instid1(VALU_DEP_3)
	v_not_b32_e32 v17, v3
	v_not_b32_e32 v26, v2
	v_lshlrev_b64 v[2:3], v16, 1
	s_delay_alu instid0(VALU_DEP_3) | instskip(NEXT) | instid1(VALU_DEP_3)
	v_and_b32_e32 v17, 0, v17
	v_and_b32_e32 v16, v11, v26
	;; [unrolled: 1-line block ×3, first 2 shown]
	s_delay_alu instid0(VALU_DEP_2) | instskip(NEXT) | instid1(VALU_DEP_2)
	v_cmp_eq_u64_e64 s0, v[16:17], v[2:3]
	v_cmp_eq_u64_e64 s1, 0, v[11:12]
	v_cndmask_b32_e64 v2, v7, 0xffffff89, vcc_lo
	v_lshrrev_b32_e32 v3, 23, v24
	s_delay_alu instid0(VALU_DEP_3) | instskip(NEXT) | instid1(VALU_DEP_1)
	s_and_b32 vcc_lo, s1, s0
	v_add3_u32 v16, v2, v18, v3
	v_subrev_co_ci_u32_e32 v7, vcc_lo, 0, v24, vcc_lo
	s_mov_b32 s0, exec_lo
	s_delay_alu instid0(VALU_DEP_2) | instskip(NEXT) | instid1(VALU_DEP_2)
	v_add_nc_u32_e32 v17, -1, v16
	v_and_b32_e32 v2, 0xfffff, v7
                                        ; implicit-def: $vgpr7
	s_delay_alu instid0(VALU_DEP_1) | instskip(SKIP_1) | instid1(VALU_DEP_4)
	v_add_co_u32 v2, vcc_lo, v2, v24
	v_add_co_ci_u32_e32 v3, vcc_lo, 0, v25, vcc_lo
	v_cmpx_ne_u32_e32 0, v17
	s_xor_b32 s0, exec_lo, s0
; %bb.89:                               ;   in Loop: Header=BB2_5 Depth=1
	s_delay_alu instid0(VALU_DEP_3) | instskip(SKIP_1) | instid1(VALU_DEP_2)
	v_and_b32_e32 v11, 0x1000000, v2
	v_bfe_u32 v7, v2, 24, 1
	v_cmp_eq_u64_e32 vcc_lo, 0, v[11:12]
	s_delay_alu instid0(VALU_DEP_2)
	v_lshrrev_b64 v[2:3], v7, v[2:3]
	v_cndmask_b32_e32 v7, v16, v17, vcc_lo
; %bb.90:                               ;   in Loop: Header=BB2_5 Depth=1
	s_and_not1_saveexec_b32 s0, s0
; %bb.91:                               ;   in Loop: Header=BB2_5 Depth=1
	s_delay_alu instid0(VALU_DEP_2)
	v_bfe_u32 v7, v2, 23, 1
; %bb.92:                               ;   in Loop: Header=BB2_5 Depth=1
	s_or_b32 exec_lo, exec_lo, s0
	s_delay_alu instid0(VALU_DEP_3) | instskip(NEXT) | instid1(VALU_DEP_2)
	v_lshrrev_b64 v[2:3], 20, v[2:3]
	v_cmp_gt_i32_e32 vcc_lo, 16, v7
	v_cmp_ne_u32_e64 s0, 0, v7
	s_delay_alu instid0(VALU_DEP_3) | instskip(NEXT) | instid1(VALU_DEP_1)
	v_dual_cndmask_b32 v17, 0, v3 :: v_dual_cndmask_b32 v16, 7, v2
                                        ; implicit-def: $vgpr2_vgpr3
	v_cmp_ne_u64_e32 vcc_lo, 0, v[16:17]
	s_delay_alu instid0(VALU_DEP_3) | instskip(NEXT) | instid1(SALU_CYCLE_1)
	s_or_b32 s0, s0, vcc_lo
	s_and_saveexec_b32 s1, s0
	s_delay_alu instid0(SALU_CYCLE_1)
	s_xor_b32 s0, exec_lo, s1
; %bb.93:                               ;   in Loop: Header=BB2_5 Depth=1
	v_min_i32_e32 v2, 15, v7
	s_delay_alu instid0(VALU_DEP_1) | instskip(NEXT) | instid1(VALU_DEP_1)
	v_lshl_or_b32 v2, v2, 3, v6
                                        ; implicit-def: $vgpr6
	v_and_or_b32 v2, v16, 7, v2
; %bb.94:                               ;   in Loop: Header=BB2_5 Depth=1
	s_and_not1_saveexec_b32 s0, s0
; %bb.95:                               ;   in Loop: Header=BB2_5 Depth=1
	v_dual_mov_b32 v2, v6 :: v_dual_mov_b32 v3, v7
; %bb.96:                               ;   in Loop: Header=BB2_5 Depth=1
	s_or_b32 exec_lo, exec_lo, s0
.LBB2_97:                               ;   in Loop: Header=BB2_5 Depth=1
	s_delay_alu instid0(SALU_CYCLE_1)
	s_or_b32 exec_lo, exec_lo, s30
.LBB2_98:                               ;   in Loop: Header=BB2_5 Depth=1
	s_and_not1_saveexec_b32 s0, s29
	s_delay_alu instid0(SALU_CYCLE_1)
	s_or_b32 exec_lo, exec_lo, s0
                                        ; implicit-def: $vgpr3
.LBB2_99:                               ;   in Loop: Header=BB2_5 Depth=1
	s_and_not1_saveexec_b32 s0, s28
; %bb.100:                              ;   in Loop: Header=BB2_5 Depth=1
	v_cmp_eq_u64_e32 vcc_lo, 0, v[11:12]
	v_or_b32_e32 v3, 0x7f, v3
	s_delay_alu instid0(VALU_DEP_1)
	v_cndmask_b32_e32 v2, v3, v2, vcc_lo
; %bb.101:                              ;   in Loop: Header=BB2_5 Depth=1
	s_or_b32 exec_lo, exec_lo, s0
	v_cvt_f32_f16_e64 v3, -v8
	s_mov_b32 s0, exec_lo
	s_delay_alu instid0(VALU_DEP_1) | instskip(SKIP_1) | instid1(VALU_DEP_2)
	v_mul_f32_e32 v6, 0x3fb8aa3b, v3
	v_cmp_ngt_f32_e32 vcc_lo, 0xc2ce8ed0, v3
	v_rndne_f32_e32 v7, v6
	v_fma_mix_f32 v11, -v8, s25, -v6 op_sel_hi:[1,0,0]
	s_delay_alu instid0(VALU_DEP_2) | instskip(NEXT) | instid1(VALU_DEP_2)
	v_sub_f32_e32 v6, v6, v7
	v_fma_mix_f32 v11, -v8, s26, v11 op_sel_hi:[1,0,0]
	v_cvt_i32_f32_e32 v7, v7
	s_delay_alu instid0(VALU_DEP_2) | instskip(NEXT) | instid1(VALU_DEP_1)
	v_add_f32_e32 v6, v6, v11
	v_exp_f32_e32 v6, v6
	s_waitcnt_depctr 0xfff
	v_ldexp_f32 v6, v6, v7
	s_delay_alu instid0(VALU_DEP_1) | instskip(SKIP_1) | instid1(VALU_DEP_2)
	v_cndmask_b32_e32 v6, 0, v6, vcc_lo
	v_cmp_nlt_f32_e32 vcc_lo, 0x42b17218, v3
	v_cndmask_b32_e32 v3, 0x7f800000, v6, vcc_lo
	v_cvt_f32_f16_e32 v6, v8
	s_delay_alu instid0(VALU_DEP_2) | instskip(NEXT) | instid1(VALU_DEP_1)
	v_add_f32_e32 v3, 1.0, v3
	v_div_scale_f32 v7, null, v3, v3, v6
	s_delay_alu instid0(VALU_DEP_1) | instskip(SKIP_2) | instid1(VALU_DEP_1)
	v_rcp_f32_e32 v11, v7
	s_waitcnt_depctr 0xfff
	v_fma_f32 v16, -v7, v11, 1.0
	v_fmac_f32_e32 v11, v16, v11
	v_div_scale_f32 v16, vcc_lo, v6, v3, v6
	s_delay_alu instid0(VALU_DEP_1) | instskip(NEXT) | instid1(VALU_DEP_1)
	v_mul_f32_e32 v17, v16, v11
	v_fma_f32 v18, -v7, v17, v16
	s_delay_alu instid0(VALU_DEP_1) | instskip(NEXT) | instid1(VALU_DEP_1)
	v_dual_fmac_f32 v17, v18, v11 :: v_dual_mov_b32 v18, v12
	v_fma_f32 v7, -v7, v17, v16
	s_delay_alu instid0(VALU_DEP_1) | instskip(NEXT) | instid1(VALU_DEP_1)
	v_div_fmas_f32 v7, v7, v11, v17
	v_div_fixup_f32 v3, v7, v3, v6
	s_delay_alu instid0(VALU_DEP_1) | instskip(NEXT) | instid1(VALU_DEP_1)
	v_cvt_f16_f32_e32 v3, v3
	v_mul_f16_e32 v3, v4, v3
	s_delay_alu instid0(VALU_DEP_1) | instskip(NEXT) | instid1(VALU_DEP_1)
	v_cvt_f32_f16_e32 v3, v3
	v_mul_f32_e32 v3, v19, v3
	s_delay_alu instid0(VALU_DEP_1) | instskip(NEXT) | instid1(VALU_DEP_1)
	v_minmax_f32 v16, v3, s27, 0xc3e00000
	v_lshrrev_b32_e32 v7, 24, v16
	v_and_b32_e32 v17, 0x7f800000, v16
	v_and_b32_e32 v11, 0x7fffff, v16
	s_delay_alu instid0(VALU_DEP_3) | instskip(NEXT) | instid1(VALU_DEP_1)
	v_and_b32_e32 v3, 0x80, v7
	v_or_b32_e32 v6, 0x7e, v3
	s_delay_alu instid0(VALU_DEP_4)
	v_cmpx_ne_u64_e32 0x7f800000, v[17:18]
	s_xor_b32 s28, exec_lo, s0
	s_cbranch_execz .LBB2_115
; %bb.102:                              ;   in Loop: Header=BB2_5 Depth=1
	v_dual_mov_b32 v18, v12 :: v_dual_and_b32 v17, 0x7fffffff, v16
	s_mov_b32 s0, exec_lo
	s_delay_alu instid0(VALU_DEP_1)
	v_cmpx_gt_u64_e32 0x43e00001, v[17:18]
	s_xor_b32 s29, exec_lo, s0
	s_cbranch_execz .LBB2_114
; %bb.103:                              ;   in Loop: Header=BB2_5 Depth=1
	s_mov_b32 s30, exec_lo
	v_mov_b32_e32 v6, 0
	v_mov_b32_e32 v7, 0
	v_cmpx_ne_u32_e32 0, v16
	s_cbranch_execz .LBB2_113
; %bb.104:                              ;   in Loop: Header=BB2_5 Depth=1
	v_bfe_u32 v18, v16, 23, 8
	s_delay_alu instid0(VALU_DEP_1) | instskip(SKIP_2) | instid1(VALU_DEP_3)
	v_sub_nc_u32_e64 v6, 0x79, v18 clamp
	v_cmp_eq_u32_e32 vcc_lo, 0, v18
	v_add_nc_u32_e32 v18, 0xffffff88, v18
	v_cndmask_b32_e64 v26, v6, 0x78, vcc_lo
	v_or_b32_e32 v6, 0x800000, v11
	s_delay_alu instid0(VALU_DEP_2) | instskip(NEXT) | instid1(VALU_DEP_2)
	v_add_nc_u32_e32 v7, 20, v26
	v_dual_cndmask_b32 v11, v6, v11 :: v_dual_add_nc_u32 v16, 19, v26
	s_delay_alu instid0(VALU_DEP_2) | instskip(NEXT) | instid1(VALU_DEP_2)
	v_lshlrev_b64 v[6:7], v7, -1
	v_lshrrev_b64 v[24:25], v26, v[11:12]
	s_delay_alu instid0(VALU_DEP_2) | instskip(NEXT) | instid1(VALU_DEP_3)
	v_not_b32_e32 v17, v7
	v_not_b32_e32 v27, v6
	v_lshlrev_b64 v[6:7], v16, 1
	s_delay_alu instid0(VALU_DEP_3) | instskip(NEXT) | instid1(VALU_DEP_3)
	v_and_b32_e32 v17, 0, v17
	v_and_b32_e32 v16, v11, v27
	;; [unrolled: 1-line block ×3, first 2 shown]
	s_delay_alu instid0(VALU_DEP_2) | instskip(NEXT) | instid1(VALU_DEP_2)
	v_cmp_eq_u64_e64 s0, v[16:17], v[6:7]
	v_cmp_eq_u64_e64 s1, 0, v[11:12]
	v_cndmask_b32_e64 v6, v18, 0xffffff89, vcc_lo
	v_lshrrev_b32_e32 v7, 23, v24
	s_delay_alu instid0(VALU_DEP_3) | instskip(NEXT) | instid1(VALU_DEP_1)
	s_and_b32 vcc_lo, s1, s0
	v_add3_u32 v16, v6, v26, v7
	v_subrev_co_ci_u32_e32 v11, vcc_lo, 0, v24, vcc_lo
	s_mov_b32 s0, exec_lo
	s_delay_alu instid0(VALU_DEP_2) | instskip(NEXT) | instid1(VALU_DEP_2)
	v_add_nc_u32_e32 v17, -1, v16
	v_and_b32_e32 v6, 0xfffff, v11
                                        ; implicit-def: $vgpr11
	s_delay_alu instid0(VALU_DEP_1) | instskip(SKIP_1) | instid1(VALU_DEP_4)
	v_add_co_u32 v6, vcc_lo, v6, v24
	v_add_co_ci_u32_e32 v7, vcc_lo, 0, v25, vcc_lo
	v_cmpx_ne_u32_e32 0, v17
	s_xor_b32 s0, exec_lo, s0
; %bb.105:                              ;   in Loop: Header=BB2_5 Depth=1
	s_delay_alu instid0(VALU_DEP_3) | instskip(SKIP_1) | instid1(VALU_DEP_2)
	v_and_b32_e32 v11, 0x1000000, v6
	v_bfe_u32 v18, v6, 24, 1
	v_cmp_eq_u64_e32 vcc_lo, 0, v[11:12]
	s_delay_alu instid0(VALU_DEP_2)
	v_lshrrev_b64 v[6:7], v18, v[6:7]
	v_cndmask_b32_e32 v11, v16, v17, vcc_lo
; %bb.106:                              ;   in Loop: Header=BB2_5 Depth=1
	s_and_not1_saveexec_b32 s0, s0
; %bb.107:                              ;   in Loop: Header=BB2_5 Depth=1
	s_delay_alu instid0(VALU_DEP_2)
	v_bfe_u32 v11, v6, 23, 1
; %bb.108:                              ;   in Loop: Header=BB2_5 Depth=1
	s_or_b32 exec_lo, exec_lo, s0
	s_delay_alu instid0(VALU_DEP_3) | instskip(NEXT) | instid1(VALU_DEP_2)
	v_lshrrev_b64 v[6:7], 20, v[6:7]
	v_cmp_gt_i32_e32 vcc_lo, 16, v11
	v_cmp_ne_u32_e64 s0, 0, v11
	s_delay_alu instid0(VALU_DEP_3) | instskip(NEXT) | instid1(VALU_DEP_1)
	v_dual_cndmask_b32 v17, 0, v7 :: v_dual_cndmask_b32 v16, 7, v6
                                        ; implicit-def: $vgpr6_vgpr7
	v_cmp_ne_u64_e32 vcc_lo, 0, v[16:17]
	s_delay_alu instid0(VALU_DEP_3) | instskip(NEXT) | instid1(SALU_CYCLE_1)
	s_or_b32 s0, s0, vcc_lo
	s_and_saveexec_b32 s1, s0
	s_delay_alu instid0(SALU_CYCLE_1)
	s_xor_b32 s0, exec_lo, s1
; %bb.109:                              ;   in Loop: Header=BB2_5 Depth=1
	v_min_i32_e32 v6, 15, v11
	s_delay_alu instid0(VALU_DEP_1) | instskip(NEXT) | instid1(VALU_DEP_1)
	v_lshl_or_b32 v3, v6, 3, v3
	v_and_or_b32 v6, v16, 7, v3
                                        ; implicit-def: $vgpr3
; %bb.110:                              ;   in Loop: Header=BB2_5 Depth=1
	s_and_not1_saveexec_b32 s0, s0
; %bb.111:                              ;   in Loop: Header=BB2_5 Depth=1
	v_dual_mov_b32 v7, v4 :: v_dual_mov_b32 v6, v3
; %bb.112:                              ;   in Loop: Header=BB2_5 Depth=1
	s_or_b32 exec_lo, exec_lo, s0
.LBB2_113:                              ;   in Loop: Header=BB2_5 Depth=1
	s_delay_alu instid0(SALU_CYCLE_1)
	s_or_b32 exec_lo, exec_lo, s30
.LBB2_114:                              ;   in Loop: Header=BB2_5 Depth=1
	s_and_not1_saveexec_b32 s0, s29
	s_delay_alu instid0(SALU_CYCLE_1)
	s_or_b32 exec_lo, exec_lo, s0
                                        ; implicit-def: $vgpr7
.LBB2_115:                              ;   in Loop: Header=BB2_5 Depth=1
	s_and_not1_saveexec_b32 s0, s28
; %bb.116:                              ;   in Loop: Header=BB2_5 Depth=1
	v_cmp_eq_u64_e32 vcc_lo, 0, v[11:12]
	v_or_b32_e32 v3, 0x7f, v7
	s_delay_alu instid0(VALU_DEP_1)
	v_cndmask_b32_e32 v6, v3, v6, vcc_lo
; %bb.117:                              ;   in Loop: Header=BB2_5 Depth=1
	s_or_b32 exec_lo, exec_lo, s0
	v_lshrrev_b32_e32 v3, 16, v8
	v_lshrrev_b32_e32 v4, 16, v4
	s_mov_b32 s0, exec_lo
	s_delay_alu instid0(VALU_DEP_2) | instskip(SKIP_1) | instid1(VALU_DEP_2)
	v_cvt_f32_f16_e64 v7, -v3
	v_cvt_f32_f16_e32 v3, v3
	v_cmp_ngt_f32_e32 vcc_lo, 0xc2ce8ed0, v7
	v_mul_f32_e32 v11, 0x3fb8aa3b, v7
	s_delay_alu instid0(VALU_DEP_1) | instskip(SKIP_1) | instid1(VALU_DEP_2)
	v_rndne_f32_e32 v16, v11
	v_fma_mix_f32 v17, -v8, s25, -v11 op_sel:[1,0,0] op_sel_hi:[1,0,0]
	v_sub_f32_e32 v11, v11, v16
	s_delay_alu instid0(VALU_DEP_2) | instskip(NEXT) | instid1(VALU_DEP_1)
	v_fma_mix_f32 v8, -v8, s26, v17 op_sel:[1,0,0] op_sel_hi:[1,0,0]
	v_add_f32_e32 v8, v11, v8
	v_cvt_i32_f32_e32 v11, v16
	s_delay_alu instid0(VALU_DEP_2) | instskip(SKIP_2) | instid1(VALU_DEP_1)
	v_exp_f32_e32 v8, v8
	s_waitcnt_depctr 0xfff
	v_ldexp_f32 v8, v8, v11
	v_cndmask_b32_e32 v8, 0, v8, vcc_lo
	v_cmp_nlt_f32_e32 vcc_lo, 0x42b17218, v7
	s_delay_alu instid0(VALU_DEP_2) | instskip(NEXT) | instid1(VALU_DEP_1)
	v_cndmask_b32_e32 v7, 0x7f800000, v8, vcc_lo
	v_add_f32_e32 v7, 1.0, v7
	s_delay_alu instid0(VALU_DEP_1) | instskip(SKIP_1) | instid1(VALU_DEP_2)
	v_div_scale_f32 v8, null, v7, v7, v3
	v_div_scale_f32 v17, vcc_lo, v3, v7, v3
	v_rcp_f32_e32 v11, v8
	s_waitcnt_depctr 0xfff
	v_fma_f32 v16, -v8, v11, 1.0
	s_delay_alu instid0(VALU_DEP_1) | instskip(NEXT) | instid1(VALU_DEP_1)
	v_fmac_f32_e32 v11, v16, v11
	v_mul_f32_e32 v16, v17, v11
	s_delay_alu instid0(VALU_DEP_1) | instskip(NEXT) | instid1(VALU_DEP_1)
	v_fma_f32 v18, -v8, v16, v17
	v_fmac_f32_e32 v16, v18, v11
	s_delay_alu instid0(VALU_DEP_1) | instskip(SKIP_1) | instid1(VALU_DEP_2)
	v_fma_f32 v8, -v8, v16, v17
	v_mov_b32_e32 v17, v12
	v_div_fmas_f32 v8, v8, v11, v16
	s_delay_alu instid0(VALU_DEP_1) | instskip(NEXT) | instid1(VALU_DEP_1)
	v_div_fixup_f32 v3, v8, v7, v3
	v_cvt_f16_f32_e32 v3, v3
	s_delay_alu instid0(VALU_DEP_1) | instskip(NEXT) | instid1(VALU_DEP_1)
	v_mul_f16_e32 v3, v4, v3
	v_cvt_f32_f16_e32 v3, v3
	s_delay_alu instid0(VALU_DEP_1) | instskip(NEXT) | instid1(VALU_DEP_1)
	v_mul_f32_e32 v3, v19, v3
	v_minmax_f32 v4, v3, s27, 0xc3e00000
	s_delay_alu instid0(VALU_DEP_1) | instskip(SKIP_2) | instid1(VALU_DEP_3)
	v_lshrrev_b32_e32 v8, 24, v4
	v_and_b32_e32 v16, 0x7f800000, v4
	v_and_b32_e32 v11, 0x7fffff, v4
	;; [unrolled: 1-line block ×3, first 2 shown]
	s_delay_alu instid0(VALU_DEP_1) | instskip(NEXT) | instid1(VALU_DEP_4)
	v_or_b32_e32 v7, 0x7e, v3
	v_cmpx_ne_u64_e32 0x7f800000, v[16:17]
	s_xor_b32 s28, exec_lo, s0
	s_cbranch_execz .LBB2_131
; %bb.118:                              ;   in Loop: Header=BB2_5 Depth=1
	v_dual_mov_b32 v17, v12 :: v_dual_and_b32 v16, 0x7fffffff, v4
	s_mov_b32 s0, exec_lo
	s_delay_alu instid0(VALU_DEP_1)
	v_cmpx_gt_u64_e32 0x43e00001, v[16:17]
	s_xor_b32 s29, exec_lo, s0
	s_cbranch_execz .LBB2_130
; %bb.119:                              ;   in Loop: Header=BB2_5 Depth=1
	s_mov_b32 s30, exec_lo
	v_mov_b32_e32 v7, 0
	v_mov_b32_e32 v8, 0
	v_cmpx_ne_u32_e32 0, v4
	s_cbranch_execz .LBB2_129
; %bb.120:                              ;   in Loop: Header=BB2_5 Depth=1
	v_bfe_u32 v4, v4, 23, 8
	s_delay_alu instid0(VALU_DEP_1) | instskip(SKIP_2) | instid1(VALU_DEP_3)
	v_sub_nc_u32_e64 v7, 0x79, v4 clamp
	v_cmp_eq_u32_e32 vcc_lo, 0, v4
	v_add_nc_u32_e32 v4, 0xffffff88, v4
	v_cndmask_b32_e64 v18, v7, 0x78, vcc_lo
	v_or_b32_e32 v7, 0x800000, v11
	s_delay_alu instid0(VALU_DEP_3) | instskip(NEXT) | instid1(VALU_DEP_2)
	v_cndmask_b32_e64 v4, v4, 0xffffff89, vcc_lo
	v_dual_cndmask_b32 v11, v7, v11 :: v_dual_add_nc_u32 v8, 20, v18
	v_add_nc_u32_e32 v16, 19, v18
	s_delay_alu instid0(VALU_DEP_2) | instskip(NEXT) | instid1(VALU_DEP_3)
	v_lshlrev_b64 v[7:8], v8, -1
	v_lshrrev_b64 v[24:25], v18, v[11:12]
	s_delay_alu instid0(VALU_DEP_2) | instskip(NEXT) | instid1(VALU_DEP_3)
	v_not_b32_e32 v17, v8
	v_not_b32_e32 v26, v7
	v_lshlrev_b64 v[7:8], v16, 1
	s_delay_alu instid0(VALU_DEP_3) | instskip(NEXT) | instid1(VALU_DEP_3)
	v_and_b32_e32 v17, 0, v17
	v_and_b32_e32 v16, v11, v26
	;; [unrolled: 1-line block ×3, first 2 shown]
	s_delay_alu instid0(VALU_DEP_2) | instskip(NEXT) | instid1(VALU_DEP_2)
	v_cmp_eq_u64_e64 s0, v[16:17], v[7:8]
	v_cmp_eq_u64_e64 s1, 0, v[11:12]
	v_lshrrev_b32_e32 v7, 23, v24
	s_delay_alu instid0(VALU_DEP_1) | instskip(NEXT) | instid1(VALU_DEP_3)
	v_add3_u32 v16, v4, v18, v7
	s_and_b32 vcc_lo, s1, s0
	s_mov_b32 s0, exec_lo
	v_subrev_co_ci_u32_e32 v8, vcc_lo, 0, v24, vcc_lo
	s_delay_alu instid0(VALU_DEP_2) | instskip(NEXT) | instid1(VALU_DEP_2)
	v_add_nc_u32_e32 v17, -1, v16
	v_and_b32_e32 v4, 0xfffff, v8
	s_delay_alu instid0(VALU_DEP_1) | instskip(SKIP_1) | instid1(VALU_DEP_4)
	v_add_co_u32 v7, vcc_lo, v4, v24
	v_add_co_ci_u32_e32 v8, vcc_lo, 0, v25, vcc_lo
                                        ; implicit-def: $vgpr4
	v_cmpx_ne_u32_e32 0, v17
	s_xor_b32 s0, exec_lo, s0
; %bb.121:                              ;   in Loop: Header=BB2_5 Depth=1
	s_delay_alu instid0(VALU_DEP_3) | instskip(SKIP_1) | instid1(VALU_DEP_2)
	v_and_b32_e32 v11, 0x1000000, v7
	v_bfe_u32 v4, v7, 24, 1
	v_cmp_eq_u64_e32 vcc_lo, 0, v[11:12]
	s_delay_alu instid0(VALU_DEP_2)
	v_lshrrev_b64 v[7:8], v4, v[7:8]
	v_cndmask_b32_e32 v4, v16, v17, vcc_lo
; %bb.122:                              ;   in Loop: Header=BB2_5 Depth=1
	s_and_not1_saveexec_b32 s0, s0
; %bb.123:                              ;   in Loop: Header=BB2_5 Depth=1
	s_delay_alu instid0(VALU_DEP_2)
	v_bfe_u32 v4, v7, 23, 1
; %bb.124:                              ;   in Loop: Header=BB2_5 Depth=1
	s_or_b32 exec_lo, exec_lo, s0
	s_delay_alu instid0(VALU_DEP_3) | instskip(NEXT) | instid1(VALU_DEP_2)
	v_lshrrev_b64 v[7:8], 20, v[7:8]
	v_cmp_gt_i32_e32 vcc_lo, 16, v4
	v_cmp_ne_u32_e64 s0, 0, v4
	s_delay_alu instid0(VALU_DEP_3) | instskip(NEXT) | instid1(VALU_DEP_1)
	v_dual_cndmask_b32 v17, 0, v8 :: v_dual_cndmask_b32 v16, 7, v7
                                        ; implicit-def: $vgpr7_vgpr8
	v_cmp_ne_u64_e32 vcc_lo, 0, v[16:17]
	s_delay_alu instid0(VALU_DEP_3) | instskip(NEXT) | instid1(SALU_CYCLE_1)
	s_or_b32 s0, s0, vcc_lo
	s_and_saveexec_b32 s1, s0
	s_delay_alu instid0(SALU_CYCLE_1)
	s_xor_b32 s0, exec_lo, s1
; %bb.125:                              ;   in Loop: Header=BB2_5 Depth=1
	v_min_i32_e32 v4, 15, v4
	s_delay_alu instid0(VALU_DEP_1) | instskip(NEXT) | instid1(VALU_DEP_1)
	v_lshl_or_b32 v3, v4, 3, v3
	v_and_or_b32 v7, v16, 7, v3
                                        ; implicit-def: $vgpr3
; %bb.126:                              ;   in Loop: Header=BB2_5 Depth=1
	s_and_not1_saveexec_b32 s0, s0
; %bb.127:                              ;   in Loop: Header=BB2_5 Depth=1
	v_dual_mov_b32 v8, v4 :: v_dual_mov_b32 v7, v3
; %bb.128:                              ;   in Loop: Header=BB2_5 Depth=1
	s_or_b32 exec_lo, exec_lo, s0
.LBB2_129:                              ;   in Loop: Header=BB2_5 Depth=1
	s_delay_alu instid0(SALU_CYCLE_1)
	s_or_b32 exec_lo, exec_lo, s30
.LBB2_130:                              ;   in Loop: Header=BB2_5 Depth=1
	s_and_not1_saveexec_b32 s0, s29
	s_delay_alu instid0(SALU_CYCLE_1)
	s_or_b32 exec_lo, exec_lo, s0
                                        ; implicit-def: $vgpr8
.LBB2_131:                              ;   in Loop: Header=BB2_5 Depth=1
	s_and_not1_saveexec_b32 s0, s28
	s_cbranch_execz .LBB2_4
; %bb.132:                              ;   in Loop: Header=BB2_5 Depth=1
	v_cmp_eq_u64_e32 vcc_lo, 0, v[11:12]
	v_or_b32_e32 v3, 0x7f, v8
	s_delay_alu instid0(VALU_DEP_1)
	v_cndmask_b32_e32 v7, v3, v7, vcc_lo
	s_branch .LBB2_4
.LBB2_133:
	s_or_b32 exec_lo, exec_lo, s18
	s_sub_i32 s0, 8, s3
	s_delay_alu instid0(SALU_CYCLE_1)
	s_cmp_gt_i32 s2, s0
	s_cbranch_scc0 .LBB2_153
; %bb.134:
	v_add_nc_u32_e32 v0, s0, v0
	s_mov_b32 s0, exec_lo
	s_delay_alu instid0(VALU_DEP_1)
	v_cmpx_gt_i32_e64 s2, v0
	s_cbranch_execz .LBB2_153
; %bb.135:
	s_load_b32 s13, s[8:9], 0xc
	v_dual_mov_b32 v1, 0 :: v_dual_lshlrev_b32 v2, 1, v0
	s_ashr_i32 s3, s2, 31
	s_add_u32 s9, s4, s10
	s_addc_u32 s12, s5, s11
	s_lshl_b64 s[0:1], s[14:15], 2
	v_add_co_u32 v6, s6, s6, v2
	s_or_b32 s0, s0, 2
	s_lshl_b64 s[4:5], s[10:11], 2
	v_add_co_ci_u32_e64 v7, null, s7, 0, s6
	s_mul_i32 s7, s0, s17
	s_mul_hi_u32 s10, s0, s16
	v_dual_mov_b32 v3, v1 :: v_dual_mov_b32 v2, v0
	s_mul_i32 s1, s1, s16
	s_mul_i32 s6, s0, s16
	s_add_i32 s0, s10, s7
	s_waitcnt lgkmcnt(0)
	s_and_b32 s7, s13, 0xffff
	s_mov_b32 s8, 0
	s_add_i32 s10, s0, s1
	s_lshl_b32 s11, s7, 1
	s_mov_b32 s13, 0x3fb8aa3b
	s_mov_b32 s14, 0x32a5705f
	;; [unrolled: 1-line block ×3, first 2 shown]
	s_branch .LBB2_137
.LBB2_136:                              ;   in Loop: Header=BB2_137 Depth=1
	s_or_b32 exec_lo, exec_lo, s0
	v_add_co_u32 v8, vcc_lo, s9, v2
	v_add_co_ci_u32_e32 v9, vcc_lo, s12, v3, vcc_lo
	v_add_co_u32 v2, vcc_lo, v2, s7
	v_add_co_ci_u32_e32 v3, vcc_lo, 0, v3, vcc_lo
	v_add_co_u32 v6, s0, v6, s11
	s_delay_alu instid0(VALU_DEP_1) | instskip(NEXT) | instid1(VALU_DEP_3)
	v_add_co_ci_u32_e64 v7, s0, 0, v7, s0
	v_cmp_le_i64_e32 vcc_lo, s[2:3], v[2:3]
	global_store_b8 v[8:9], v5, off
	s_or_b32 s8, vcc_lo, s8
	s_delay_alu instid0(SALU_CYCLE_1)
	s_and_not1_b32 exec_lo, exec_lo, s8
	s_cbranch_execz .LBB2_153
.LBB2_137:                              ; =>This Inner Loop Header: Depth=1
	v_add_co_u32 v4, vcc_lo, v6, s4
	v_add_co_ci_u32_e32 v5, vcc_lo, s5, v7, vcc_lo
	s_mov_b32 s0, exec_lo
	global_load_u16 v0, v[4:5], off
	v_add_co_u32 v4, vcc_lo, v6, s6
	v_add_co_ci_u32_e32 v5, vcc_lo, s10, v7, vcc_lo
	global_load_u16 v4, v[4:5], off
	s_waitcnt vmcnt(1)
	v_cvt_f32_f16_e64 v5, -v0
	s_delay_alu instid0(VALU_DEP_1) | instskip(SKIP_1) | instid1(VALU_DEP_2)
	v_mul_f32_e32 v8, 0x3fb8aa3b, v5
	v_cmp_ngt_f32_e32 vcc_lo, 0xc2ce8ed0, v5
	v_fma_mix_f32 v9, -v0, s13, -v8 op_sel_hi:[1,0,0]
	v_rndne_f32_e32 v10, v8
	s_delay_alu instid0(VALU_DEP_2) | instskip(NEXT) | instid1(VALU_DEP_2)
	v_fma_mix_f32 v9, -v0, s14, v9 op_sel_hi:[1,0,0]
	v_sub_f32_e32 v8, v8, v10
	v_cvt_f32_f16_e32 v0, v0
	s_delay_alu instid0(VALU_DEP_2) | instskip(SKIP_1) | instid1(VALU_DEP_2)
	v_add_f32_e32 v8, v8, v9
	v_cvt_i32_f32_e32 v9, v10
	v_exp_f32_e32 v8, v8
	s_waitcnt_depctr 0xfff
	v_ldexp_f32 v8, v8, v9
	s_delay_alu instid0(VALU_DEP_1) | instskip(SKIP_1) | instid1(VALU_DEP_2)
	v_cndmask_b32_e32 v8, 0, v8, vcc_lo
	v_cmp_nlt_f32_e32 vcc_lo, 0x42b17218, v5
	v_cndmask_b32_e32 v5, 0x7f800000, v8, vcc_lo
	s_delay_alu instid0(VALU_DEP_1) | instskip(NEXT) | instid1(VALU_DEP_1)
	v_add_f32_e32 v5, 1.0, v5
	v_div_scale_f32 v8, null, v5, v5, v0
	s_delay_alu instid0(VALU_DEP_1) | instskip(SKIP_2) | instid1(VALU_DEP_1)
	v_rcp_f32_e32 v9, v8
	s_waitcnt_depctr 0xfff
	v_fma_f32 v10, -v8, v9, 1.0
	v_fmac_f32_e32 v9, v10, v9
	v_div_scale_f32 v10, vcc_lo, v0, v5, v0
	s_delay_alu instid0(VALU_DEP_1) | instskip(NEXT) | instid1(VALU_DEP_1)
	v_mul_f32_e32 v11, v10, v9
	v_fma_f32 v12, -v8, v11, v10
	s_delay_alu instid0(VALU_DEP_1) | instskip(NEXT) | instid1(VALU_DEP_1)
	v_fmac_f32_e32 v11, v12, v9
	v_fma_f32 v8, -v8, v11, v10
	s_delay_alu instid0(VALU_DEP_1) | instskip(SKIP_1) | instid1(VALU_DEP_2)
	v_div_fmas_f32 v8, v8, v9, v11
	v_mov_b32_e32 v11, v1
	v_div_fixup_f32 v0, v8, v5, v0
	s_delay_alu instid0(VALU_DEP_1) | instskip(SKIP_1) | instid1(VALU_DEP_1)
	v_cvt_f16_f32_e32 v0, v0
	s_waitcnt vmcnt(0)
	v_mul_f16_e32 v0, v4, v0
	s_delay_alu instid0(VALU_DEP_1) | instskip(NEXT) | instid1(VALU_DEP_1)
	v_cvt_f32_f16_e32 v0, v0
	v_mul_f32_e32 v0, v19, v0
	s_delay_alu instid0(VALU_DEP_1) | instskip(NEXT) | instid1(VALU_DEP_1)
	v_minmax_f32 v4, v0, s15, 0xc3e00000
	v_and_b32_e32 v10, 0x7f800000, v4
	v_lshrrev_b32_e32 v9, 24, v4
	v_and_b32_e32 v0, 0x7fffff, v4
	s_delay_alu instid0(VALU_DEP_2) | instskip(NEXT) | instid1(VALU_DEP_1)
	v_and_b32_e32 v8, 0x80, v9
	v_or_b32_e32 v5, 0x7e, v8
	v_cmpx_ne_u64_e32 0x7f800000, v[10:11]
	s_xor_b32 s16, exec_lo, s0
	s_cbranch_execz .LBB2_151
; %bb.138:                              ;   in Loop: Header=BB2_137 Depth=1
	v_dual_mov_b32 v10, v1 :: v_dual_and_b32 v9, 0x7fffffff, v4
	s_mov_b32 s0, exec_lo
	s_delay_alu instid0(VALU_DEP_1)
	v_cmpx_gt_u64_e32 0x43e00001, v[9:10]
	s_xor_b32 s17, exec_lo, s0
	s_cbranch_execz .LBB2_150
; %bb.139:                              ;   in Loop: Header=BB2_137 Depth=1
	v_mov_b32_e32 v5, 0
	s_mov_b32 s18, exec_lo
	v_cmpx_ne_u32_e32 0, v4
	s_cbranch_execz .LBB2_149
; %bb.140:                              ;   in Loop: Header=BB2_137 Depth=1
	v_bfe_u32 v13, v4, 23, 8
	s_delay_alu instid0(VALU_DEP_1) | instskip(SKIP_2) | instid1(VALU_DEP_3)
	v_sub_nc_u32_e64 v4, 0x79, v13 clamp
	v_cmp_eq_u32_e32 vcc_lo, 0, v13
	v_add_nc_u32_e32 v13, 0xffffff88, v13
	v_cndmask_b32_e64 v14, v4, 0x78, vcc_lo
	v_or_b32_e32 v4, 0x800000, v0
	s_delay_alu instid0(VALU_DEP_1) | instskip(SKIP_1) | instid1(VALU_DEP_2)
	v_dual_cndmask_b32 v0, v4, v0 :: v_dual_add_nc_u32 v5, 20, v14
	v_add_nc_u32_e32 v9, 19, v14
	v_lshlrev_b64 v[4:5], v5, -1
	s_delay_alu instid0(VALU_DEP_3) | instskip(NEXT) | instid1(VALU_DEP_2)
	v_lshrrev_b64 v[11:12], v14, v[0:1]
	v_not_b32_e32 v10, v5
	s_delay_alu instid0(VALU_DEP_3) | instskip(SKIP_1) | instid1(VALU_DEP_3)
	v_not_b32_e32 v15, v4
	v_lshlrev_b64 v[4:5], v9, 1
	v_and_b32_e32 v10, 0, v10
	s_delay_alu instid0(VALU_DEP_3) | instskip(SKIP_1) | instid1(VALU_DEP_2)
	v_and_b32_e32 v9, v0, v15
	v_and_b32_e32 v0, 0x100000, v11
	v_cmp_eq_u64_e64 s0, v[9:10], v[4:5]
	s_delay_alu instid0(VALU_DEP_2) | instskip(SKIP_2) | instid1(VALU_DEP_3)
	v_cmp_eq_u64_e64 s1, 0, v[0:1]
	v_cndmask_b32_e64 v0, v13, 0xffffff89, vcc_lo
	v_lshrrev_b32_e32 v4, 23, v11
	s_and_b32 vcc_lo, s1, s0
	s_delay_alu instid0(VALU_DEP_1) | instskip(SKIP_2) | instid1(VALU_DEP_2)
	v_add3_u32 v9, v0, v14, v4
	v_subrev_co_ci_u32_e32 v5, vcc_lo, 0, v11, vcc_lo
	s_mov_b32 s0, exec_lo
	v_add_nc_u32_e32 v10, -1, v9
	s_delay_alu instid0(VALU_DEP_2) | instskip(NEXT) | instid1(VALU_DEP_1)
	v_and_b32_e32 v0, 0xfffff, v5
	v_add_co_u32 v4, vcc_lo, v0, v11
	v_add_co_ci_u32_e32 v5, vcc_lo, 0, v12, vcc_lo
                                        ; implicit-def: $vgpr0
	s_delay_alu instid0(VALU_DEP_4)
	v_cmpx_ne_u32_e32 0, v10
	s_xor_b32 s0, exec_lo, s0
; %bb.141:                              ;   in Loop: Header=BB2_137 Depth=1
	s_delay_alu instid0(VALU_DEP_3) | instskip(SKIP_1) | instid1(VALU_DEP_2)
	v_and_b32_e32 v0, 0x1000000, v4
	v_bfe_u32 v11, v4, 24, 1
	v_cmp_eq_u64_e32 vcc_lo, 0, v[0:1]
	s_delay_alu instid0(VALU_DEP_2)
	v_lshrrev_b64 v[4:5], v11, v[4:5]
	v_cndmask_b32_e32 v0, v9, v10, vcc_lo
; %bb.142:                              ;   in Loop: Header=BB2_137 Depth=1
	s_and_not1_saveexec_b32 s0, s0
; %bb.143:                              ;   in Loop: Header=BB2_137 Depth=1
	s_delay_alu instid0(VALU_DEP_2)
	v_bfe_u32 v0, v4, 23, 1
; %bb.144:                              ;   in Loop: Header=BB2_137 Depth=1
	s_or_b32 exec_lo, exec_lo, s0
	s_delay_alu instid0(VALU_DEP_3) | instskip(NEXT) | instid1(VALU_DEP_2)
	v_lshrrev_b64 v[4:5], 20, v[4:5]
	v_cmp_gt_i32_e32 vcc_lo, 16, v0
	v_cmp_ne_u32_e64 s0, 0, v0
	s_delay_alu instid0(VALU_DEP_3) | instskip(NEXT) | instid1(VALU_DEP_1)
	v_dual_cndmask_b32 v5, 0, v5 :: v_dual_cndmask_b32 v4, 7, v4
	v_cmp_ne_u64_e32 vcc_lo, 0, v[4:5]
                                        ; implicit-def: $vgpr5
	s_delay_alu instid0(VALU_DEP_3) | instskip(NEXT) | instid1(SALU_CYCLE_1)
	s_or_b32 s0, s0, vcc_lo
	s_and_saveexec_b32 s1, s0
	s_delay_alu instid0(SALU_CYCLE_1)
	s_xor_b32 s0, exec_lo, s1
; %bb.145:                              ;   in Loop: Header=BB2_137 Depth=1
	v_min_i32_e32 v0, 15, v0
	s_delay_alu instid0(VALU_DEP_1) | instskip(NEXT) | instid1(VALU_DEP_1)
	v_lshl_or_b32 v0, v0, 3, v8
                                        ; implicit-def: $vgpr8
	v_and_or_b32 v5, v4, 7, v0
; %bb.146:                              ;   in Loop: Header=BB2_137 Depth=1
	s_and_not1_saveexec_b32 s0, s0
; %bb.147:                              ;   in Loop: Header=BB2_137 Depth=1
	v_mov_b32_e32 v5, v8
; %bb.148:                              ;   in Loop: Header=BB2_137 Depth=1
	s_or_b32 exec_lo, exec_lo, s0
.LBB2_149:                              ;   in Loop: Header=BB2_137 Depth=1
	s_delay_alu instid0(SALU_CYCLE_1)
	s_or_b32 exec_lo, exec_lo, s18
.LBB2_150:                              ;   in Loop: Header=BB2_137 Depth=1
	s_and_not1_saveexec_b32 s0, s17
	s_delay_alu instid0(SALU_CYCLE_1)
	s_or_b32 exec_lo, exec_lo, s0
                                        ; implicit-def: $vgpr9
.LBB2_151:                              ;   in Loop: Header=BB2_137 Depth=1
	s_and_not1_saveexec_b32 s0, s16
	s_cbranch_execz .LBB2_136
; %bb.152:                              ;   in Loop: Header=BB2_137 Depth=1
	v_cmp_eq_u64_e32 vcc_lo, 0, v[0:1]
	v_or_b32_e32 v4, 0x7f, v9
	s_delay_alu instid0(VALU_DEP_1)
	v_cndmask_b32_e32 v5, v4, v5, vcc_lo
	s_branch .LBB2_136
.LBB2_153:
	s_nop 0
	s_sendmsg sendmsg(MSG_DEALLOC_VGPRS)
	s_endpgm
	.section	.rodata,"a",@progbits
	.p2align	6, 0x0
	.amdhsa_kernel _ZN4vllm24act_and_mul_quant_kernelIN3c104HalfETnPFT_RKS3_EXadL_ZNS_11silu_kernelIS2_EES3_S5_EENS1_13Float8_e4m3fnEEEvPT1_PS4_PKfi
		.amdhsa_group_segment_fixed_size 0
		.amdhsa_private_segment_fixed_size 0
		.amdhsa_kernarg_size 288
		.amdhsa_user_sgpr_count 14
		.amdhsa_user_sgpr_dispatch_ptr 0
		.amdhsa_user_sgpr_queue_ptr 0
		.amdhsa_user_sgpr_kernarg_segment_ptr 1
		.amdhsa_user_sgpr_dispatch_id 0
		.amdhsa_user_sgpr_private_segment_size 0
		.amdhsa_wavefront_size32 1
		.amdhsa_uses_dynamic_stack 0
		.amdhsa_enable_private_segment 0
		.amdhsa_system_sgpr_workgroup_id_x 1
		.amdhsa_system_sgpr_workgroup_id_y 1
		.amdhsa_system_sgpr_workgroup_id_z 0
		.amdhsa_system_sgpr_workgroup_info 0
		.amdhsa_system_vgpr_workitem_id 0
		.amdhsa_next_free_vgpr 28
		.amdhsa_next_free_sgpr 31
		.amdhsa_reserve_vcc 1
		.amdhsa_float_round_mode_32 0
		.amdhsa_float_round_mode_16_64 0
		.amdhsa_float_denorm_mode_32 3
		.amdhsa_float_denorm_mode_16_64 3
		.amdhsa_dx10_clamp 1
		.amdhsa_ieee_mode 1
		.amdhsa_fp16_overflow 0
		.amdhsa_workgroup_processor_mode 1
		.amdhsa_memory_ordered 1
		.amdhsa_forward_progress 0
		.amdhsa_shared_vgpr_count 0
		.amdhsa_exception_fp_ieee_invalid_op 0
		.amdhsa_exception_fp_denorm_src 0
		.amdhsa_exception_fp_ieee_div_zero 0
		.amdhsa_exception_fp_ieee_overflow 0
		.amdhsa_exception_fp_ieee_underflow 0
		.amdhsa_exception_fp_ieee_inexact 0
		.amdhsa_exception_int_div_zero 0
	.end_amdhsa_kernel
	.section	.text._ZN4vllm24act_and_mul_quant_kernelIN3c104HalfETnPFT_RKS3_EXadL_ZNS_11silu_kernelIS2_EES3_S5_EENS1_13Float8_e4m3fnEEEvPT1_PS4_PKfi,"axG",@progbits,_ZN4vllm24act_and_mul_quant_kernelIN3c104HalfETnPFT_RKS3_EXadL_ZNS_11silu_kernelIS2_EES3_S5_EENS1_13Float8_e4m3fnEEEvPT1_PS4_PKfi,comdat
.Lfunc_end2:
	.size	_ZN4vllm24act_and_mul_quant_kernelIN3c104HalfETnPFT_RKS3_EXadL_ZNS_11silu_kernelIS2_EES3_S5_EENS1_13Float8_e4m3fnEEEvPT1_PS4_PKfi, .Lfunc_end2-_ZN4vllm24act_and_mul_quant_kernelIN3c104HalfETnPFT_RKS3_EXadL_ZNS_11silu_kernelIS2_EES3_S5_EENS1_13Float8_e4m3fnEEEvPT1_PS4_PKfi
                                        ; -- End function
	.section	.AMDGPU.csdata,"",@progbits
; Kernel info:
; codeLenInByte = 8612
; NumSgprs: 33
; NumVgprs: 28
; ScratchSize: 0
; MemoryBound: 0
; FloatMode: 240
; IeeeMode: 1
; LDSByteSize: 0 bytes/workgroup (compile time only)
; SGPRBlocks: 4
; VGPRBlocks: 3
; NumSGPRsForWavesPerEU: 33
; NumVGPRsForWavesPerEU: 28
; Occupancy: 16
; WaveLimiterHint : 0
; COMPUTE_PGM_RSRC2:SCRATCH_EN: 0
; COMPUTE_PGM_RSRC2:USER_SGPR: 14
; COMPUTE_PGM_RSRC2:TRAP_HANDLER: 0
; COMPUTE_PGM_RSRC2:TGID_X_EN: 1
; COMPUTE_PGM_RSRC2:TGID_Y_EN: 1
; COMPUTE_PGM_RSRC2:TGID_Z_EN: 0
; COMPUTE_PGM_RSRC2:TIDIG_COMP_CNT: 0
	.section	.text._ZN4vllm24act_and_mul_quant_kernelIN3c104HalfETnPFT_RKS3_EXadL_ZNS_11silu_kernelIS2_EES3_S5_EENS1_15Float8_e4m3fnuzEEEvPT1_PS4_PKfi,"axG",@progbits,_ZN4vllm24act_and_mul_quant_kernelIN3c104HalfETnPFT_RKS3_EXadL_ZNS_11silu_kernelIS2_EES3_S5_EENS1_15Float8_e4m3fnuzEEEvPT1_PS4_PKfi,comdat
	.protected	_ZN4vllm24act_and_mul_quant_kernelIN3c104HalfETnPFT_RKS3_EXadL_ZNS_11silu_kernelIS2_EES3_S5_EENS1_15Float8_e4m3fnuzEEEvPT1_PS4_PKfi ; -- Begin function _ZN4vllm24act_and_mul_quant_kernelIN3c104HalfETnPFT_RKS3_EXadL_ZNS_11silu_kernelIS2_EES3_S5_EENS1_15Float8_e4m3fnuzEEEvPT1_PS4_PKfi
	.globl	_ZN4vllm24act_and_mul_quant_kernelIN3c104HalfETnPFT_RKS3_EXadL_ZNS_11silu_kernelIS2_EES3_S5_EENS1_15Float8_e4m3fnuzEEEvPT1_PS4_PKfi
	.p2align	8
	.type	_ZN4vllm24act_and_mul_quant_kernelIN3c104HalfETnPFT_RKS3_EXadL_ZNS_11silu_kernelIS2_EES3_S5_EENS1_15Float8_e4m3fnuzEEEvPT1_PS4_PKfi,@function
_ZN4vllm24act_and_mul_quant_kernelIN3c104HalfETnPFT_RKS3_EXadL_ZNS_11silu_kernelIS2_EES3_S5_EENS1_15Float8_e4m3fnuzEEEvPT1_PS4_PKfi: ; @_ZN4vllm24act_and_mul_quant_kernelIN3c104HalfETnPFT_RKS3_EXadL_ZNS_11silu_kernelIS2_EES3_S5_EENS1_15Float8_e4m3fnuzEEEvPT1_PS4_PKfi
; %bb.0:
	s_clause 0x1
	s_load_b32 s3, s[0:1], 0x24
	s_load_b32 s16, s[0:1], 0x18
	s_add_u32 s8, s0, 32
	s_addc_u32 s9, s1, 0
	s_mov_b32 s2, s15
	s_waitcnt lgkmcnt(0)
	s_abs_i32 s10, s3
	s_add_i32 s6, s16, s3
	v_cvt_f32_u32_e32 v1, s10
	s_sub_i32 s5, 0, s10
	s_add_i32 s11, s6, -1
	s_delay_alu instid0(SALU_CYCLE_1) | instskip(NEXT) | instid1(VALU_DEP_1)
	s_abs_i32 s12, s11
	v_rcp_iflag_f32_e32 v1, v1
	s_xor_b32 s3, s11, s3
	s_delay_alu instid0(SALU_CYCLE_1) | instskip(SKIP_2) | instid1(VALU_DEP_1)
	s_ashr_i32 s3, s3, 31
	s_waitcnt_depctr 0xfff
	v_mul_f32_e32 v1, 0x4f7ffffe, v1
	v_cvt_u32_f32_e32 v1, v1
	s_delay_alu instid0(VALU_DEP_1) | instskip(NEXT) | instid1(VALU_DEP_1)
	v_readfirstlane_b32 s4, v1
	s_mul_i32 s5, s5, s4
	s_delay_alu instid0(SALU_CYCLE_1) | instskip(NEXT) | instid1(SALU_CYCLE_1)
	s_mul_hi_u32 s5, s4, s5
	s_add_i32 s13, s4, s5
	s_load_b128 s[4:7], s[0:1], 0x0
	s_mul_hi_u32 s13, s12, s13
	s_delay_alu instid0(SALU_CYCLE_1) | instskip(NEXT) | instid1(SALU_CYCLE_1)
	s_mul_i32 s11, s13, s10
	s_sub_i32 s11, s12, s11
	s_add_i32 s12, s13, 1
	s_sub_i32 s15, s11, s10
	s_cmp_ge_u32 s11, s10
	s_cselect_b32 s12, s12, s13
	s_cselect_b32 s11, s15, s11
	s_add_i32 s13, s12, 1
	s_cmp_ge_u32 s11, s10
	s_mov_b32 s15, 0
	s_cselect_b32 s10, s13, s12
	s_delay_alu instid0(SALU_CYCLE_1) | instskip(NEXT) | instid1(SALU_CYCLE_1)
	s_xor_b32 s10, s10, s3
	s_sub_i32 s3, s10, s3
	s_delay_alu instid0(SALU_CYCLE_1) | instskip(NEXT) | instid1(SALU_CYCLE_1)
	s_and_b32 s10, s3, 7
	s_cmp_eq_u32 s10, 0
	s_cbranch_scc1 .LBB3_2
; %bb.1:
	s_ashr_i32 s10, s3, 31
	s_delay_alu instid0(SALU_CYCLE_1) | instskip(NEXT) | instid1(SALU_CYCLE_1)
	s_lshr_b32 s10, s10, 29
	s_add_i32 s3, s3, s10
	s_delay_alu instid0(SALU_CYCLE_1) | instskip(NEXT) | instid1(SALU_CYCLE_1)
	s_and_b32 s3, s3, -8
	s_add_i32 s3, s3, 8
.LBB3_2:
	s_load_b64 s[0:1], s[0:1], 0x10
	s_mul_i32 s10, s3, s2
	s_ashr_i32 s17, s16, 31
	s_add_i32 s2, s10, s3
	s_mul_hi_u32 s12, s16, s14
	s_min_i32 s2, s2, s16
	s_mul_i32 s13, s17, s14
	s_abs_i32 s3, s2
	s_mov_b32 s18, exec_lo
	v_cvt_f32_u32_e32 v1, s3
	s_sub_i32 s11, 0, s3
	s_delay_alu instid0(VALU_DEP_1) | instskip(SKIP_4) | instid1(VALU_DEP_1)
	v_rcp_iflag_f32_e32 v1, v1
	s_waitcnt lgkmcnt(0)
	s_load_b32 s1, s[0:1], 0x0
	s_waitcnt_depctr 0xfff
	v_mul_f32_e32 v1, 0x4f7ffffe, v1
	v_cvt_u32_f32_e32 v1, v1
	s_delay_alu instid0(VALU_DEP_1) | instskip(NEXT) | instid1(VALU_DEP_1)
	v_readfirstlane_b32 s0, v1
	s_mul_i32 s11, s11, s0
	s_waitcnt lgkmcnt(0)
	v_div_scale_f32 v2, null, s1, s1, 1.0
	s_mul_hi_u32 s11, s0, s11
	v_div_scale_f32 v4, vcc_lo, 1.0, s1, 1.0
	s_delay_alu instid0(VALU_DEP_2) | instskip(SKIP_3) | instid1(SALU_CYCLE_1)
	v_rcp_f32_e32 v1, v2
	s_add_i32 s0, s0, s11
	s_add_i32 s11, s12, s13
	s_lshr_b32 s0, s0, 29
	s_mul_i32 s0, s0, s3
	s_delay_alu instid0(SALU_CYCLE_1) | instskip(NEXT) | instid1(SALU_CYCLE_1)
	s_sub_i32 s0, 8, s0
	s_sub_i32 s12, s0, s3
	s_waitcnt_depctr 0xfff
	v_fma_f32 v3, -v2, v1, 1.0
	s_cmp_ge_u32 s0, s3
	s_cselect_b32 s0, s12, s0
	s_delay_alu instid0(SALU_CYCLE_1) | instskip(NEXT) | instid1(VALU_DEP_1)
	s_sub_i32 s12, s0, s3
	v_fmac_f32_e32 v1, v3, v1
	s_cmp_ge_u32 s0, s3
	s_cselect_b32 s3, s12, s0
	s_delay_alu instid0(VALU_DEP_1) | instskip(SKIP_3) | instid1(VALU_DEP_1)
	v_mul_f32_e32 v3, v4, v1
	s_cmp_eq_u32 s3, 0
	s_cselect_b32 s0, -1, 0
	s_ashr_i32 s12, s10, 31
	v_fma_f32 v5, -v2, v3, v4
	s_lshr_b32 s12, s12, 29
	v_cndmask_b32_e64 v18, 0, 1, s0
	s_add_i32 s10, s10, s12
	s_delay_alu instid0(VALU_DEP_2) | instskip(SKIP_3) | instid1(VALU_DEP_2)
	v_fmac_f32_e32 v3, v5, v1
	s_ashr_i32 s0, s10, 3
	s_mul_i32 s10, s16, s14
	v_add_nc_u32_e32 v19, s0, v0
	v_fma_f32 v2, -v2, v3, v4
	s_delay_alu instid0(VALU_DEP_1) | instskip(NEXT) | instid1(VALU_DEP_1)
	v_div_fmas_f32 v1, v2, v1, v3
	v_div_fixup_f32 v17, v1, s1, 1.0
	s_delay_alu instid0(VALU_DEP_4)
	v_cmpx_lt_i32_e64 v19, v18
	s_cbranch_execz .LBB3_85
; %bb.3:
	s_load_b32 s1, s[8:9], 0xc
	s_ashr_i32 s22, s0, 31
	v_add_co_u32 v1, s0, s0, v0
	s_delay_alu instid0(VALU_DEP_1)
	v_add_co_ci_u32_e64 v2, null, s22, 0, s0
	s_lshl_b64 s[20:21], s[14:15], 2
	s_lshl_b64 s[12:13], s[10:11], 2
	s_or_b32 s0, s20, 2
	s_mul_i32 s20, s21, s16
	s_mul_i32 s21, s0, s17
	s_mul_hi_u32 s22, s0, s16
	v_lshlrev_b64 v[3:4], 4, v[1:2]
	s_add_i32 s21, s22, s21
	v_lshlrev_b64 v[1:2], 3, v[1:2]
	s_add_i32 s20, s21, s20
	s_mul_i32 s23, s0, s16
	v_mov_b32_e32 v12, 0
	v_add_co_u32 v20, vcc_lo, s6, v3
	s_waitcnt lgkmcnt(0)
	s_and_b32 s21, s1, 0xffff
	v_add_co_ci_u32_e32 v21, vcc_lo, s7, v4, vcc_lo
	s_lshl_b32 s22, s21, 4
	s_add_u32 s0, s4, s10
	s_addc_u32 s1, s5, s11
	v_add_co_u32 v9, vcc_lo, s0, v1
	v_add_co_ci_u32_e32 v10, vcc_lo, s1, v2, vcc_lo
	s_mov_b32 s19, 0
	s_lshl_b32 s24, s21, 3
	s_mov_b32 s25, 0x3fb8aa3b
	s_mov_b32 s26, 0x32a5705f
	;; [unrolled: 1-line block ×3, first 2 shown]
	s_branch .LBB3_8
.LBB3_4:                                ;   in Loop: Header=BB3_8 Depth=1
	s_or_b32 exec_lo, exec_lo, s0
	s_delay_alu instid0(VALU_DEP_2) | instskip(NEXT) | instid1(VALU_DEP_2)
	v_lshrrev_b64 v[3:4], 20, v[3:4]
	v_cmp_gt_i32_e32 vcc_lo, 16, v8
	v_and_b32_e32 v7, 0x80, v7
	v_min_i32_e32 v11, 15, v8
	v_cmp_eq_u32_e64 s0, 0, v8
	v_dual_cndmask_b32 v4, 0, v4 :: v_dual_cndmask_b32 v3, 7, v3
	s_delay_alu instid0(VALU_DEP_3) | instskip(NEXT) | instid1(VALU_DEP_2)
	v_lshl_or_b32 v7, v11, 3, v7
	v_cmp_eq_u64_e32 vcc_lo, 0, v[3:4]
	s_delay_alu instid0(VALU_DEP_2)
	v_and_or_b32 v3, v3, 7, v7
	s_and_b32 s0, s0, vcc_lo
	s_delay_alu instid0(VALU_DEP_1) | instid1(SALU_CYCLE_1)
	v_cndmask_b32_e64 v3, v3, 0, s0
.LBB3_5:                                ;   in Loop: Header=BB3_8 Depth=1
	s_or_b32 exec_lo, exec_lo, s30
.LBB3_6:                                ;   in Loop: Header=BB3_8 Depth=1
	s_and_not1_saveexec_b32 s0, s29
	s_delay_alu instid0(SALU_CYCLE_1)
	s_or_b32 exec_lo, exec_lo, s0
.LBB3_7:                                ;   in Loop: Header=BB3_8 Depth=1
	s_and_not1_saveexec_b32 s0, s28
	s_delay_alu instid0(SALU_CYCLE_1)
	s_or_b32 exec_lo, exec_lo, s0
	v_lshlrev_b32_e32 v4, 16, v6
	v_lshlrev_b32_e32 v6, 16, v15
	;; [unrolled: 1-line block ×5, first 2 shown]
	v_and_b32_e32 v4, 0xff0000, v4
	v_perm_b32 v1, v1, v6, 0x4020c0c
	v_and_b32_e32 v5, 0xff, v5
	v_and_b32_e32 v6, 0xff, v13
	;; [unrolled: 1-line block ×3, first 2 shown]
	v_or_b32_e32 v3, v3, v4
	v_and_or_b32 v1, 0xff00, v7, v1
	v_add_nc_u32_e32 v19, s21, v19
	v_add_co_u32 v20, vcc_lo, v20, s22
	s_delay_alu instid0(VALU_DEP_4) | instskip(NEXT) | instid1(VALU_DEP_4)
	v_or3_b32 v2, v3, v2, v5
	v_or_b32_e32 v1, v1, v6
	v_add_co_ci_u32_e32 v21, vcc_lo, 0, v21, vcc_lo
	v_cmp_ge_i32_e32 vcc_lo, v19, v18
	global_store_b64 v[9:10], v[1:2], off
	v_add_co_u32 v9, s0, v9, s24
	s_delay_alu instid0(VALU_DEP_1) | instskip(SKIP_1) | instid1(SALU_CYCLE_1)
	v_add_co_ci_u32_e64 v10, s0, 0, v10, s0
	s_or_b32 s19, vcc_lo, s19
	s_and_not1_b32 exec_lo, exec_lo, s19
	s_cbranch_execz .LBB3_85
.LBB3_8:                                ; =>This Inner Loop Header: Depth=1
	v_add_co_u32 v1, vcc_lo, v20, s12
	v_add_co_ci_u32_e32 v2, vcc_lo, s13, v21, vcc_lo
	s_mov_b32 s0, exec_lo
	global_load_b128 v[5:8], v[1:2], off
	v_add_co_u32 v1, vcc_lo, v20, s23
	v_add_co_ci_u32_e32 v2, vcc_lo, s20, v21, vcc_lo
	global_load_b128 v[1:4], v[1:2], off
	s_waitcnt vmcnt(1)
	v_cvt_f32_f16_e64 v11, -v5
	s_delay_alu instid0(VALU_DEP_1) | instskip(SKIP_1) | instid1(VALU_DEP_2)
	v_mul_f32_e32 v13, 0x3fb8aa3b, v11
	v_cmp_ngt_f32_e32 vcc_lo, 0xc2ce8ed0, v11
	v_fma_mix_f32 v14, -v5, s25, -v13 op_sel_hi:[1,0,0]
	v_rndne_f32_e32 v15, v13
	s_delay_alu instid0(VALU_DEP_2) | instskip(NEXT) | instid1(VALU_DEP_2)
	v_fma_mix_f32 v14, -v5, s26, v14 op_sel_hi:[1,0,0]
	v_sub_f32_e32 v13, v13, v15
	s_delay_alu instid0(VALU_DEP_1) | instskip(SKIP_1) | instid1(VALU_DEP_2)
	v_add_f32_e32 v13, v13, v14
	v_cvt_i32_f32_e32 v14, v15
	v_exp_f32_e32 v13, v13
	s_waitcnt_depctr 0xfff
	v_ldexp_f32 v13, v13, v14
	s_delay_alu instid0(VALU_DEP_1) | instskip(SKIP_1) | instid1(VALU_DEP_2)
	v_cndmask_b32_e32 v13, 0, v13, vcc_lo
	v_cmp_nlt_f32_e32 vcc_lo, 0x42b17218, v11
	v_cndmask_b32_e32 v11, 0x7f800000, v13, vcc_lo
	v_cvt_f32_f16_e32 v13, v5
	s_delay_alu instid0(VALU_DEP_2) | instskip(NEXT) | instid1(VALU_DEP_1)
	v_add_f32_e32 v11, 1.0, v11
	v_div_scale_f32 v14, null, v11, v11, v13
	s_delay_alu instid0(VALU_DEP_1) | instskip(SKIP_2) | instid1(VALU_DEP_1)
	v_rcp_f32_e32 v15, v14
	s_waitcnt_depctr 0xfff
	v_fma_f32 v16, -v14, v15, 1.0
	v_fmac_f32_e32 v15, v16, v15
	v_div_scale_f32 v16, vcc_lo, v13, v11, v13
	s_delay_alu instid0(VALU_DEP_1) | instskip(NEXT) | instid1(VALU_DEP_1)
	v_mul_f32_e32 v22, v16, v15
	v_fma_f32 v23, -v14, v22, v16
	s_delay_alu instid0(VALU_DEP_1) | instskip(NEXT) | instid1(VALU_DEP_1)
	v_fmac_f32_e32 v22, v23, v15
	v_fma_f32 v14, -v14, v22, v16
	s_delay_alu instid0(VALU_DEP_1) | instskip(NEXT) | instid1(VALU_DEP_1)
	v_div_fmas_f32 v14, v14, v15, v22
	v_div_fixup_f32 v11, v14, v11, v13
	s_delay_alu instid0(VALU_DEP_1) | instskip(SKIP_1) | instid1(VALU_DEP_1)
	v_cvt_f16_f32_e32 v11, v11
	s_waitcnt vmcnt(0)
	v_mul_f16_e32 v11, v1, v11
	s_delay_alu instid0(VALU_DEP_1) | instskip(NEXT) | instid1(VALU_DEP_1)
	v_cvt_f32_f16_e32 v11, v11
	v_mul_f32_e32 v11, v17, v11
	s_delay_alu instid0(VALU_DEP_1) | instskip(NEXT) | instid1(VALU_DEP_1)
	v_minmax_f32 v16, v11, s27, 0xc3600000
	v_lshrrev_b32_e32 v15, 24, v16
	v_and_b32_e32 v11, 0x7f800000, v16
	s_delay_alu instid0(VALU_DEP_2) | instskip(NEXT) | instid1(VALU_DEP_2)
	v_or_b32_e32 v13, 0x7f, v15
	v_cmpx_ne_u64_e32 0x7f800000, v[11:12]
	s_xor_b32 s28, exec_lo, s0
	s_cbranch_execz .LBB3_18
; %bb.9:                                ;   in Loop: Header=BB3_8 Depth=1
	v_and_b32_e32 v11, 0x7fffffff, v16
	s_mov_b32 s0, exec_lo
	s_delay_alu instid0(VALU_DEP_1)
	v_cmpx_gt_u64_e32 0x43700001, v[11:12]
	s_xor_b32 s29, exec_lo, s0
	s_cbranch_execz .LBB3_17
; %bb.10:                               ;   in Loop: Header=BB3_8 Depth=1
	s_mov_b32 s30, exec_lo
	v_mov_b32_e32 v13, 0
	v_mov_b32_e32 v14, 0
	v_cmpx_ne_u32_e32 0, v16
	s_cbranch_execz .LBB3_16
; %bb.11:                               ;   in Loop: Header=BB3_8 Depth=1
	v_bfe_u32 v22, v16, 23, 8
	v_and_b32_e32 v13, 0x7fffff, v16
	s_delay_alu instid0(VALU_DEP_2) | instskip(SKIP_2) | instid1(VALU_DEP_3)
	v_sub_nc_u32_e64 v11, 0x78, v22 clamp
	v_cmp_eq_u32_e32 vcc_lo, 0, v22
	v_add_nc_u32_e32 v22, 0xffffff89, v22
	v_cndmask_b32_e64 v16, v11, 0x77, vcc_lo
	v_or_b32_e32 v11, 0x800000, v13
	s_delay_alu instid0(VALU_DEP_1) | instskip(SKIP_1) | instid1(VALU_DEP_2)
	v_dual_cndmask_b32 v11, v11, v13 :: v_dual_add_nc_u32 v14, 20, v16
	v_add_nc_u32_e32 v25, 19, v16
	v_lshlrev_b64 v[13:14], v14, -1
	s_delay_alu instid0(VALU_DEP_3) | instskip(NEXT) | instid1(VALU_DEP_3)
	v_lshrrev_b64 v[23:24], v16, v[11:12]
	v_lshlrev_b64 v[25:26], v25, 1
	v_mov_b32_e32 v14, v12
	s_delay_alu instid0(VALU_DEP_4) | instskip(NEXT) | instid1(VALU_DEP_1)
	v_not_b32_e32 v13, v13
	v_and_b32_e32 v13, v11, v13
	v_and_b32_e32 v11, 0x100000, v23
	s_delay_alu instid0(VALU_DEP_2) | instskip(NEXT) | instid1(VALU_DEP_2)
	v_cmp_eq_u64_e64 s0, v[13:14], v[25:26]
	v_cmp_eq_u64_e64 s1, 0, v[11:12]
	v_cndmask_b32_e64 v11, v22, 0xffffff8a, vcc_lo
	v_lshrrev_b32_e32 v13, 23, v23
	s_delay_alu instid0(VALU_DEP_3) | instskip(NEXT) | instid1(VALU_DEP_1)
	s_and_b32 vcc_lo, s1, s0
	v_add3_u32 v16, v11, v16, v13
	v_subrev_co_ci_u32_e32 v14, vcc_lo, 0, v23, vcc_lo
	s_mov_b32 s0, exec_lo
	s_delay_alu instid0(VALU_DEP_2) | instskip(NEXT) | instid1(VALU_DEP_2)
	v_add_nc_u32_e32 v22, -1, v16
	v_and_b32_e32 v11, 0xfffff, v14
	s_delay_alu instid0(VALU_DEP_1) | instskip(SKIP_1) | instid1(VALU_DEP_4)
	v_add_co_u32 v13, vcc_lo, v11, v23
	v_add_co_ci_u32_e32 v14, vcc_lo, 0, v24, vcc_lo
                                        ; implicit-def: $vgpr11
	v_cmpx_ne_u32_e32 0, v22
	s_xor_b32 s0, exec_lo, s0
; %bb.12:                               ;   in Loop: Header=BB3_8 Depth=1
	s_delay_alu instid0(VALU_DEP_3) | instskip(SKIP_1) | instid1(VALU_DEP_2)
	v_and_b32_e32 v11, 0x1000000, v13
	v_bfe_u32 v23, v13, 24, 1
	v_cmp_eq_u64_e32 vcc_lo, 0, v[11:12]
	s_delay_alu instid0(VALU_DEP_2)
	v_lshrrev_b64 v[13:14], v23, v[13:14]
	v_cndmask_b32_e32 v11, v16, v22, vcc_lo
; %bb.13:                               ;   in Loop: Header=BB3_8 Depth=1
	s_and_not1_saveexec_b32 s0, s0
; %bb.14:                               ;   in Loop: Header=BB3_8 Depth=1
	s_delay_alu instid0(VALU_DEP_2)
	v_bfe_u32 v11, v13, 23, 1
; %bb.15:                               ;   in Loop: Header=BB3_8 Depth=1
	s_or_b32 exec_lo, exec_lo, s0
	s_delay_alu instid0(VALU_DEP_3) | instskip(NEXT) | instid1(VALU_DEP_2)
	v_lshrrev_b64 v[13:14], 20, v[13:14]
	v_cmp_gt_i32_e32 vcc_lo, 16, v11
	v_and_b32_e32 v15, 0x80, v15
	v_min_i32_e32 v16, 15, v11
	v_cmp_eq_u32_e64 s0, 0, v11
	v_dual_cndmask_b32 v14, 0, v14 :: v_dual_cndmask_b32 v13, 7, v13
	s_delay_alu instid0(VALU_DEP_3) | instskip(NEXT) | instid1(VALU_DEP_2)
	v_lshl_or_b32 v15, v16, 3, v15
	v_cmp_eq_u64_e32 vcc_lo, 0, v[13:14]
	s_delay_alu instid0(VALU_DEP_2)
	v_and_or_b32 v11, v13, 7, v15
	s_and_b32 s0, s0, vcc_lo
	s_delay_alu instid0(VALU_DEP_1) | instid1(SALU_CYCLE_1)
	v_cndmask_b32_e64 v13, v11, 0, s0
.LBB3_16:                               ;   in Loop: Header=BB3_8 Depth=1
	s_or_b32 exec_lo, exec_lo, s30
.LBB3_17:                               ;   in Loop: Header=BB3_8 Depth=1
	s_and_not1_saveexec_b32 s0, s29
	s_delay_alu instid0(SALU_CYCLE_1)
	s_or_b32 exec_lo, exec_lo, s0
.LBB3_18:                               ;   in Loop: Header=BB3_8 Depth=1
	s_and_not1_saveexec_b32 s0, s28
	s_delay_alu instid0(SALU_CYCLE_1) | instskip(SKIP_3) | instid1(VALU_DEP_2)
	s_or_b32 exec_lo, exec_lo, s0
	v_lshrrev_b32_e32 v11, 16, v5
	v_lshrrev_b32_e32 v1, 16, v1
	s_mov_b32 s0, exec_lo
	v_cvt_f32_f16_e64 v14, -v11
	v_cvt_f32_f16_e32 v11, v11
	s_delay_alu instid0(VALU_DEP_2) | instskip(SKIP_1) | instid1(VALU_DEP_2)
	v_mul_f32_e32 v15, 0x3fb8aa3b, v14
	v_cmp_ngt_f32_e32 vcc_lo, 0xc2ce8ed0, v14
	v_rndne_f32_e32 v16, v15
	v_fma_mix_f32 v22, -v5, s25, -v15 op_sel:[1,0,0] op_sel_hi:[1,0,0]
	s_delay_alu instid0(VALU_DEP_2) | instskip(NEXT) | instid1(VALU_DEP_2)
	v_sub_f32_e32 v15, v15, v16
	v_fma_mix_f32 v5, -v5, s26, v22 op_sel:[1,0,0] op_sel_hi:[1,0,0]
	s_delay_alu instid0(VALU_DEP_1) | instskip(SKIP_1) | instid1(VALU_DEP_2)
	v_add_f32_e32 v5, v15, v5
	v_cvt_i32_f32_e32 v15, v16
	v_exp_f32_e32 v5, v5
	s_waitcnt_depctr 0xfff
	v_ldexp_f32 v5, v5, v15
	s_delay_alu instid0(VALU_DEP_1) | instskip(SKIP_1) | instid1(VALU_DEP_2)
	v_cndmask_b32_e32 v5, 0, v5, vcc_lo
	v_cmp_nlt_f32_e32 vcc_lo, 0x42b17218, v14
	v_cndmask_b32_e32 v5, 0x7f800000, v5, vcc_lo
	s_delay_alu instid0(VALU_DEP_1) | instskip(NEXT) | instid1(VALU_DEP_1)
	v_add_f32_e32 v5, 1.0, v5
	v_div_scale_f32 v14, null, v5, v5, v11
	v_div_scale_f32 v22, vcc_lo, v11, v5, v11
	s_delay_alu instid0(VALU_DEP_2) | instskip(SKIP_2) | instid1(VALU_DEP_1)
	v_rcp_f32_e32 v15, v14
	s_waitcnt_depctr 0xfff
	v_fma_f32 v16, -v14, v15, 1.0
	v_fmac_f32_e32 v15, v16, v15
	s_delay_alu instid0(VALU_DEP_1) | instskip(NEXT) | instid1(VALU_DEP_1)
	v_mul_f32_e32 v16, v22, v15
	v_fma_f32 v23, -v14, v16, v22
	s_delay_alu instid0(VALU_DEP_1) | instskip(NEXT) | instid1(VALU_DEP_1)
	v_fmac_f32_e32 v16, v23, v15
	v_fma_f32 v14, -v14, v16, v22
	s_delay_alu instid0(VALU_DEP_1) | instskip(NEXT) | instid1(VALU_DEP_1)
	v_div_fmas_f32 v14, v14, v15, v16
	v_div_fixup_f32 v5, v14, v5, v11
	s_delay_alu instid0(VALU_DEP_1) | instskip(NEXT) | instid1(VALU_DEP_1)
	v_cvt_f16_f32_e32 v5, v5
	v_mul_f16_e32 v1, v1, v5
	s_delay_alu instid0(VALU_DEP_1) | instskip(NEXT) | instid1(VALU_DEP_1)
	v_cvt_f32_f16_e32 v1, v1
	v_mul_f32_e32 v1, v17, v1
	s_delay_alu instid0(VALU_DEP_1) | instskip(NEXT) | instid1(VALU_DEP_1)
	v_minmax_f32 v5, v1, s27, 0xc3600000
	v_lshrrev_b32_e32 v1, 24, v5
	v_and_b32_e32 v11, 0x7f800000, v5
	s_delay_alu instid0(VALU_DEP_2) | instskip(NEXT) | instid1(VALU_DEP_2)
	v_or_b32_e32 v14, 0x7f, v1
	v_cmpx_ne_u64_e32 0x7f800000, v[11:12]
	s_xor_b32 s28, exec_lo, s0
	s_cbranch_execz .LBB3_28
; %bb.19:                               ;   in Loop: Header=BB3_8 Depth=1
	v_and_b32_e32 v11, 0x7fffffff, v5
	s_mov_b32 s0, exec_lo
	s_delay_alu instid0(VALU_DEP_1)
	v_cmpx_gt_u64_e32 0x43700001, v[11:12]
	s_xor_b32 s29, exec_lo, s0
	s_cbranch_execz .LBB3_27
; %bb.20:                               ;   in Loop: Header=BB3_8 Depth=1
	s_mov_b32 s30, exec_lo
	v_mov_b32_e32 v14, 0
	v_mov_b32_e32 v15, 0
	v_cmpx_ne_u32_e32 0, v5
	s_cbranch_execz .LBB3_26
; %bb.21:                               ;   in Loop: Header=BB3_8 Depth=1
	v_bfe_u32 v16, v5, 23, 8
	v_and_b32_e32 v5, 0x7fffff, v5
	s_delay_alu instid0(VALU_DEP_2) | instskip(SKIP_1) | instid1(VALU_DEP_2)
	v_sub_nc_u32_e64 v11, 0x78, v16 clamp
	v_cmp_eq_u32_e32 vcc_lo, 0, v16
	v_cndmask_b32_e64 v22, v11, 0x77, vcc_lo
	s_delay_alu instid0(VALU_DEP_4) | instskip(NEXT) | instid1(VALU_DEP_1)
	v_or_b32_e32 v11, 0x800000, v5
	v_dual_cndmask_b32 v11, v11, v5 :: v_dual_add_nc_u32 v14, 20, v22
	v_add_nc_u32_e32 v5, 19, v22
	s_delay_alu instid0(VALU_DEP_2) | instskip(NEXT) | instid1(VALU_DEP_3)
	v_lshlrev_b64 v[14:15], v14, -1
	v_lshrrev_b64 v[23:24], v22, v[11:12]
	s_delay_alu instid0(VALU_DEP_3) | instskip(SKIP_1) | instid1(VALU_DEP_4)
	v_lshlrev_b64 v[25:26], v5, 1
	v_add_nc_u32_e32 v5, 0xffffff89, v16
	v_not_b32_e32 v14, v14
	v_mov_b32_e32 v15, v12
	s_delay_alu instid0(VALU_DEP_3) | instskip(NEXT) | instid1(VALU_DEP_3)
	v_cndmask_b32_e64 v5, v5, 0xffffff8a, vcc_lo
	v_and_b32_e32 v14, v11, v14
	v_and_b32_e32 v11, 0x100000, v23
	s_delay_alu instid0(VALU_DEP_2) | instskip(NEXT) | instid1(VALU_DEP_2)
	v_cmp_eq_u64_e64 s0, v[14:15], v[25:26]
	v_cmp_eq_u64_e64 s1, 0, v[11:12]
	v_lshrrev_b32_e32 v11, 23, v23
	s_delay_alu instid0(VALU_DEP_1) | instskip(NEXT) | instid1(VALU_DEP_3)
	v_add3_u32 v16, v5, v22, v11
	s_and_b32 vcc_lo, s1, s0
	s_mov_b32 s0, exec_lo
	v_subrev_co_ci_u32_e32 v14, vcc_lo, 0, v23, vcc_lo
	s_delay_alu instid0(VALU_DEP_2) | instskip(NEXT) | instid1(VALU_DEP_2)
	v_add_nc_u32_e32 v22, -1, v16
	v_and_b32_e32 v5, 0xfffff, v14
	s_delay_alu instid0(VALU_DEP_1) | instskip(SKIP_1) | instid1(VALU_DEP_4)
	v_add_co_u32 v14, vcc_lo, v5, v23
	v_add_co_ci_u32_e32 v15, vcc_lo, 0, v24, vcc_lo
                                        ; implicit-def: $vgpr5
	v_cmpx_ne_u32_e32 0, v22
	s_xor_b32 s0, exec_lo, s0
; %bb.22:                               ;   in Loop: Header=BB3_8 Depth=1
	s_delay_alu instid0(VALU_DEP_3) | instskip(SKIP_1) | instid1(VALU_DEP_2)
	v_and_b32_e32 v11, 0x1000000, v14
	v_bfe_u32 v5, v14, 24, 1
	v_cmp_eq_u64_e32 vcc_lo, 0, v[11:12]
	s_delay_alu instid0(VALU_DEP_2)
	v_lshrrev_b64 v[14:15], v5, v[14:15]
	v_cndmask_b32_e32 v5, v16, v22, vcc_lo
; %bb.23:                               ;   in Loop: Header=BB3_8 Depth=1
	s_and_not1_saveexec_b32 s0, s0
; %bb.24:                               ;   in Loop: Header=BB3_8 Depth=1
	s_delay_alu instid0(VALU_DEP_2)
	v_bfe_u32 v5, v14, 23, 1
; %bb.25:                               ;   in Loop: Header=BB3_8 Depth=1
	s_or_b32 exec_lo, exec_lo, s0
	s_delay_alu instid0(VALU_DEP_3) | instskip(NEXT) | instid1(VALU_DEP_2)
	v_lshrrev_b64 v[14:15], 20, v[14:15]
	v_cmp_gt_i32_e32 vcc_lo, 16, v5
	v_and_b32_e32 v1, 0x80, v1
	v_min_i32_e32 v11, 15, v5
	v_cmp_eq_u32_e64 s0, 0, v5
	v_dual_cndmask_b32 v14, 7, v14 :: v_dual_cndmask_b32 v15, 0, v15
	s_delay_alu instid0(VALU_DEP_3) | instskip(NEXT) | instid1(VALU_DEP_2)
	v_lshl_or_b32 v1, v11, 3, v1
	v_cmp_eq_u64_e32 vcc_lo, 0, v[14:15]
	s_delay_alu instid0(VALU_DEP_2)
	v_and_or_b32 v1, v14, 7, v1
	s_and_b32 s0, s0, vcc_lo
	s_delay_alu instid0(VALU_DEP_1) | instid1(SALU_CYCLE_1)
	v_cndmask_b32_e64 v14, v1, 0, s0
.LBB3_26:                               ;   in Loop: Header=BB3_8 Depth=1
	s_or_b32 exec_lo, exec_lo, s30
.LBB3_27:                               ;   in Loop: Header=BB3_8 Depth=1
	s_and_not1_saveexec_b32 s0, s29
	s_delay_alu instid0(SALU_CYCLE_1)
	s_or_b32 exec_lo, exec_lo, s0
.LBB3_28:                               ;   in Loop: Header=BB3_8 Depth=1
	s_and_not1_saveexec_b32 s0, s28
	s_delay_alu instid0(SALU_CYCLE_1) | instskip(SKIP_2) | instid1(VALU_DEP_1)
	s_or_b32 exec_lo, exec_lo, s0
	v_cvt_f32_f16_e64 v1, -v6
	s_mov_b32 s0, exec_lo
	v_mul_f32_e32 v5, 0x3fb8aa3b, v1
	v_cmp_ngt_f32_e32 vcc_lo, 0xc2ce8ed0, v1
	s_delay_alu instid0(VALU_DEP_2) | instskip(SKIP_1) | instid1(VALU_DEP_2)
	v_rndne_f32_e32 v11, v5
	v_fma_mix_f32 v15, -v6, s25, -v5 op_sel_hi:[1,0,0]
	v_sub_f32_e32 v5, v5, v11
	s_delay_alu instid0(VALU_DEP_2) | instskip(SKIP_1) | instid1(VALU_DEP_2)
	v_fma_mix_f32 v15, -v6, s26, v15 op_sel_hi:[1,0,0]
	v_cvt_i32_f32_e32 v11, v11
	v_add_f32_e32 v5, v5, v15
	s_delay_alu instid0(VALU_DEP_1) | instskip(SKIP_2) | instid1(VALU_DEP_1)
	v_exp_f32_e32 v5, v5
	s_waitcnt_depctr 0xfff
	v_ldexp_f32 v5, v5, v11
	v_cndmask_b32_e32 v5, 0, v5, vcc_lo
	v_cmp_nlt_f32_e32 vcc_lo, 0x42b17218, v1
	s_delay_alu instid0(VALU_DEP_2) | instskip(SKIP_1) | instid1(VALU_DEP_2)
	v_cndmask_b32_e32 v1, 0x7f800000, v5, vcc_lo
	v_cvt_f32_f16_e32 v5, v6
	v_add_f32_e32 v1, 1.0, v1
	s_delay_alu instid0(VALU_DEP_1) | instskip(NEXT) | instid1(VALU_DEP_1)
	v_div_scale_f32 v11, null, v1, v1, v5
	v_rcp_f32_e32 v15, v11
	s_waitcnt_depctr 0xfff
	v_fma_f32 v16, -v11, v15, 1.0
	s_delay_alu instid0(VALU_DEP_1) | instskip(SKIP_1) | instid1(VALU_DEP_1)
	v_fmac_f32_e32 v15, v16, v15
	v_div_scale_f32 v16, vcc_lo, v5, v1, v5
	v_mul_f32_e32 v22, v16, v15
	s_delay_alu instid0(VALU_DEP_1) | instskip(NEXT) | instid1(VALU_DEP_1)
	v_fma_f32 v23, -v11, v22, v16
	v_fmac_f32_e32 v22, v23, v15
	s_delay_alu instid0(VALU_DEP_1) | instskip(NEXT) | instid1(VALU_DEP_1)
	v_fma_f32 v11, -v11, v22, v16
	v_div_fmas_f32 v11, v11, v15, v22
	s_delay_alu instid0(VALU_DEP_1) | instskip(NEXT) | instid1(VALU_DEP_1)
	v_div_fixup_f32 v1, v11, v1, v5
	v_cvt_f16_f32_e32 v1, v1
	s_delay_alu instid0(VALU_DEP_1) | instskip(NEXT) | instid1(VALU_DEP_1)
	v_mul_f16_e32 v1, v2, v1
	v_cvt_f32_f16_e32 v1, v1
	s_delay_alu instid0(VALU_DEP_1) | instskip(NEXT) | instid1(VALU_DEP_1)
	v_mul_f32_e32 v1, v17, v1
	v_minmax_f32 v5, v1, s27, 0xc3600000
	s_delay_alu instid0(VALU_DEP_1) | instskip(SKIP_1) | instid1(VALU_DEP_2)
	v_lshrrev_b32_e32 v1, 24, v5
	v_and_b32_e32 v11, 0x7f800000, v5
	v_or_b32_e32 v15, 0x7f, v1
	s_delay_alu instid0(VALU_DEP_2)
	v_cmpx_ne_u64_e32 0x7f800000, v[11:12]
	s_xor_b32 s28, exec_lo, s0
	s_cbranch_execz .LBB3_38
; %bb.29:                               ;   in Loop: Header=BB3_8 Depth=1
	v_and_b32_e32 v11, 0x7fffffff, v5
	s_mov_b32 s0, exec_lo
	s_delay_alu instid0(VALU_DEP_1)
	v_cmpx_gt_u64_e32 0x43700001, v[11:12]
	s_xor_b32 s29, exec_lo, s0
	s_cbranch_execz .LBB3_37
; %bb.30:                               ;   in Loop: Header=BB3_8 Depth=1
	s_mov_b32 s30, exec_lo
	v_mov_b32_e32 v15, 0
	v_mov_b32_e32 v16, 0
	v_cmpx_ne_u32_e32 0, v5
	s_cbranch_execz .LBB3_36
; %bb.31:                               ;   in Loop: Header=BB3_8 Depth=1
	v_bfe_u32 v26, v5, 23, 8
	v_and_b32_e32 v5, 0x7fffff, v5
	s_delay_alu instid0(VALU_DEP_2) | instskip(SKIP_1) | instid1(VALU_DEP_2)
	v_sub_nc_u32_e64 v11, 0x78, v26 clamp
	v_cmp_eq_u32_e32 vcc_lo, 0, v26
	v_cndmask_b32_e64 v27, v11, 0x77, vcc_lo
	s_delay_alu instid0(VALU_DEP_1) | instskip(NEXT) | instid1(VALU_DEP_1)
	v_add_nc_u32_e32 v15, 20, v27
	v_lshlrev_b64 v[15:16], v15, -1
	v_mov_b32_e32 v16, v12
	v_or_b32_e32 v11, 0x800000, v5
	s_delay_alu instid0(VALU_DEP_3) | instskip(NEXT) | instid1(VALU_DEP_2)
	v_not_b32_e32 v15, v15
	v_cndmask_b32_e32 v11, v11, v5, vcc_lo
	v_add_nc_u32_e32 v5, 19, v27
	s_delay_alu instid0(VALU_DEP_2) | instskip(NEXT) | instid1(VALU_DEP_2)
	v_lshrrev_b64 v[24:25], v27, v[11:12]
	v_lshlrev_b64 v[22:23], v5, 1
	v_and_b32_e32 v15, v11, v15
	v_add_nc_u32_e32 v5, 0xffffff89, v26
	s_delay_alu instid0(VALU_DEP_4) | instskip(NEXT) | instid1(VALU_DEP_3)
	v_and_b32_e32 v11, 0x100000, v24
	v_cmp_eq_u64_e64 s0, v[15:16], v[22:23]
	s_delay_alu instid0(VALU_DEP_3) | instskip(NEXT) | instid1(VALU_DEP_3)
	v_cndmask_b32_e64 v5, v5, 0xffffff8a, vcc_lo
	v_cmp_eq_u64_e64 s1, 0, v[11:12]
	v_lshrrev_b32_e32 v11, 23, v24
	s_delay_alu instid0(VALU_DEP_1) | instskip(NEXT) | instid1(VALU_DEP_3)
	v_add3_u32 v22, v5, v27, v11
	s_and_b32 vcc_lo, s1, s0
	s_mov_b32 s0, exec_lo
	v_subrev_co_ci_u32_e32 v15, vcc_lo, 0, v24, vcc_lo
	s_delay_alu instid0(VALU_DEP_2) | instskip(NEXT) | instid1(VALU_DEP_2)
	v_add_nc_u32_e32 v23, -1, v22
	v_and_b32_e32 v5, 0xfffff, v15
	s_delay_alu instid0(VALU_DEP_1) | instskip(SKIP_1) | instid1(VALU_DEP_4)
	v_add_co_u32 v15, vcc_lo, v5, v24
	v_add_co_ci_u32_e32 v16, vcc_lo, 0, v25, vcc_lo
                                        ; implicit-def: $vgpr5
	v_cmpx_ne_u32_e32 0, v23
	s_xor_b32 s0, exec_lo, s0
; %bb.32:                               ;   in Loop: Header=BB3_8 Depth=1
	s_delay_alu instid0(VALU_DEP_3) | instskip(SKIP_1) | instid1(VALU_DEP_2)
	v_and_b32_e32 v11, 0x1000000, v15
	v_bfe_u32 v5, v15, 24, 1
	v_cmp_eq_u64_e32 vcc_lo, 0, v[11:12]
	s_delay_alu instid0(VALU_DEP_2)
	v_lshrrev_b64 v[15:16], v5, v[15:16]
	v_cndmask_b32_e32 v5, v22, v23, vcc_lo
; %bb.33:                               ;   in Loop: Header=BB3_8 Depth=1
	s_and_not1_saveexec_b32 s0, s0
; %bb.34:                               ;   in Loop: Header=BB3_8 Depth=1
	s_delay_alu instid0(VALU_DEP_2)
	v_bfe_u32 v5, v15, 23, 1
; %bb.35:                               ;   in Loop: Header=BB3_8 Depth=1
	s_or_b32 exec_lo, exec_lo, s0
	s_delay_alu instid0(VALU_DEP_3) | instskip(NEXT) | instid1(VALU_DEP_2)
	v_lshrrev_b64 v[15:16], 20, v[15:16]
	v_cmp_gt_i32_e32 vcc_lo, 16, v5
	v_and_b32_e32 v1, 0x80, v1
	v_min_i32_e32 v11, 15, v5
	v_cmp_eq_u32_e64 s0, 0, v5
	v_dual_cndmask_b32 v16, 0, v16 :: v_dual_cndmask_b32 v15, 7, v15
	s_delay_alu instid0(VALU_DEP_3) | instskip(NEXT) | instid1(VALU_DEP_2)
	v_lshl_or_b32 v1, v11, 3, v1
	v_cmp_eq_u64_e32 vcc_lo, 0, v[15:16]
	s_delay_alu instid0(VALU_DEP_2)
	v_and_or_b32 v1, v15, 7, v1
	s_and_b32 s0, s0, vcc_lo
	s_delay_alu instid0(VALU_DEP_1) | instid1(SALU_CYCLE_1)
	v_cndmask_b32_e64 v15, v1, 0, s0
.LBB3_36:                               ;   in Loop: Header=BB3_8 Depth=1
	s_or_b32 exec_lo, exec_lo, s30
.LBB3_37:                               ;   in Loop: Header=BB3_8 Depth=1
	s_and_not1_saveexec_b32 s0, s29
	s_delay_alu instid0(SALU_CYCLE_1)
	s_or_b32 exec_lo, exec_lo, s0
.LBB3_38:                               ;   in Loop: Header=BB3_8 Depth=1
	s_and_not1_saveexec_b32 s0, s28
	s_delay_alu instid0(SALU_CYCLE_1) | instskip(SKIP_3) | instid1(VALU_DEP_2)
	s_or_b32 exec_lo, exec_lo, s0
	v_lshrrev_b32_e32 v1, 16, v6
	v_lshrrev_b32_e32 v2, 16, v2
	s_mov_b32 s0, exec_lo
	v_cvt_f32_f16_e64 v5, -v1
	v_cvt_f32_f16_e32 v1, v1
	s_delay_alu instid0(VALU_DEP_2) | instskip(SKIP_1) | instid1(VALU_DEP_1)
	v_cmp_ngt_f32_e32 vcc_lo, 0xc2ce8ed0, v5
	v_mul_f32_e32 v11, 0x3fb8aa3b, v5
	v_rndne_f32_e32 v16, v11
	v_fma_mix_f32 v22, -v6, s25, -v11 op_sel:[1,0,0] op_sel_hi:[1,0,0]
	s_delay_alu instid0(VALU_DEP_2) | instskip(NEXT) | instid1(VALU_DEP_2)
	v_sub_f32_e32 v11, v11, v16
	v_fma_mix_f32 v6, -v6, s26, v22 op_sel:[1,0,0] op_sel_hi:[1,0,0]
	s_delay_alu instid0(VALU_DEP_1) | instskip(SKIP_1) | instid1(VALU_DEP_2)
	v_add_f32_e32 v6, v11, v6
	v_cvt_i32_f32_e32 v11, v16
	v_exp_f32_e32 v6, v6
	s_waitcnt_depctr 0xfff
	v_ldexp_f32 v6, v6, v11
	s_delay_alu instid0(VALU_DEP_1) | instskip(SKIP_1) | instid1(VALU_DEP_2)
	v_cndmask_b32_e32 v6, 0, v6, vcc_lo
	v_cmp_nlt_f32_e32 vcc_lo, 0x42b17218, v5
	v_cndmask_b32_e32 v5, 0x7f800000, v6, vcc_lo
	s_delay_alu instid0(VALU_DEP_1) | instskip(NEXT) | instid1(VALU_DEP_1)
	v_add_f32_e32 v5, 1.0, v5
	v_div_scale_f32 v6, null, v5, v5, v1
	v_div_scale_f32 v22, vcc_lo, v1, v5, v1
	s_delay_alu instid0(VALU_DEP_2) | instskip(SKIP_2) | instid1(VALU_DEP_1)
	v_rcp_f32_e32 v11, v6
	s_waitcnt_depctr 0xfff
	v_fma_f32 v16, -v6, v11, 1.0
	v_fmac_f32_e32 v11, v16, v11
	s_delay_alu instid0(VALU_DEP_1) | instskip(NEXT) | instid1(VALU_DEP_1)
	v_mul_f32_e32 v16, v22, v11
	v_fma_f32 v23, -v6, v16, v22
	s_delay_alu instid0(VALU_DEP_1) | instskip(NEXT) | instid1(VALU_DEP_1)
	v_fmac_f32_e32 v16, v23, v11
	v_fma_f32 v6, -v6, v16, v22
	s_delay_alu instid0(VALU_DEP_1) | instskip(NEXT) | instid1(VALU_DEP_1)
	v_div_fmas_f32 v6, v6, v11, v16
	v_div_fixup_f32 v1, v6, v5, v1
	s_delay_alu instid0(VALU_DEP_1) | instskip(NEXT) | instid1(VALU_DEP_1)
	v_cvt_f16_f32_e32 v1, v1
	v_mul_f16_e32 v1, v2, v1
	s_delay_alu instid0(VALU_DEP_1) | instskip(NEXT) | instid1(VALU_DEP_1)
	v_cvt_f32_f16_e32 v1, v1
	v_mul_f32_e32 v1, v17, v1
	s_delay_alu instid0(VALU_DEP_1) | instskip(NEXT) | instid1(VALU_DEP_1)
	v_minmax_f32 v6, v1, s27, 0xc3600000
	v_lshrrev_b32_e32 v5, 24, v6
	v_and_b32_e32 v11, 0x7f800000, v6
	s_delay_alu instid0(VALU_DEP_2) | instskip(NEXT) | instid1(VALU_DEP_2)
	v_or_b32_e32 v1, 0x7f, v5
	v_cmpx_ne_u64_e32 0x7f800000, v[11:12]
	s_xor_b32 s28, exec_lo, s0
	s_cbranch_execz .LBB3_48
; %bb.39:                               ;   in Loop: Header=BB3_8 Depth=1
	v_and_b32_e32 v11, 0x7fffffff, v6
	s_mov_b32 s0, exec_lo
	s_delay_alu instid0(VALU_DEP_1)
	v_cmpx_gt_u64_e32 0x43700001, v[11:12]
	s_xor_b32 s29, exec_lo, s0
	s_cbranch_execz .LBB3_47
; %bb.40:                               ;   in Loop: Header=BB3_8 Depth=1
	s_mov_b32 s30, exec_lo
	v_mov_b32_e32 v1, 0
	v_mov_b32_e32 v2, 0
	v_cmpx_ne_u32_e32 0, v6
	s_cbranch_execz .LBB3_46
; %bb.41:                               ;   in Loop: Header=BB3_8 Depth=1
	v_bfe_u32 v16, v6, 23, 8
	v_and_b32_e32 v2, 0x7fffff, v6
	s_delay_alu instid0(VALU_DEP_2) | instskip(SKIP_2) | instid1(VALU_DEP_3)
	v_sub_nc_u32_e64 v1, 0x78, v16 clamp
	v_cmp_eq_u32_e32 vcc_lo, 0, v16
	v_add_nc_u32_e32 v16, 0xffffff89, v16
	v_cndmask_b32_e64 v6, v1, 0x77, vcc_lo
	v_or_b32_e32 v1, 0x800000, v2
	s_delay_alu instid0(VALU_DEP_2) | instskip(NEXT) | instid1(VALU_DEP_2)
	v_add_nc_u32_e32 v22, 20, v6
	v_cndmask_b32_e32 v11, v1, v2, vcc_lo
	s_delay_alu instid0(VALU_DEP_2) | instskip(SKIP_2) | instid1(VALU_DEP_4)
	v_lshlrev_b64 v[1:2], v22, -1
	v_mov_b32_e32 v2, v12
	v_add_nc_u32_e32 v22, 19, v6
	v_lshrrev_b64 v[23:24], v6, v[11:12]
	s_delay_alu instid0(VALU_DEP_4) | instskip(NEXT) | instid1(VALU_DEP_3)
	v_not_b32_e32 v1, v1
	v_lshlrev_b64 v[25:26], v22, 1
	s_delay_alu instid0(VALU_DEP_2) | instskip(NEXT) | instid1(VALU_DEP_4)
	v_and_b32_e32 v1, v11, v1
	v_and_b32_e32 v11, 0x100000, v23
	s_delay_alu instid0(VALU_DEP_2) | instskip(NEXT) | instid1(VALU_DEP_2)
	v_cmp_eq_u64_e64 s0, v[1:2], v[25:26]
	v_cmp_eq_u64_e64 s1, 0, v[11:12]
	v_cndmask_b32_e64 v1, v16, 0xffffff8a, vcc_lo
	v_lshrrev_b32_e32 v2, 23, v23
	s_delay_alu instid0(VALU_DEP_3) | instskip(NEXT) | instid1(VALU_DEP_1)
	s_and_b32 vcc_lo, s1, s0
	v_add3_u32 v16, v1, v6, v2
	v_subrev_co_ci_u32_e32 v11, vcc_lo, 0, v23, vcc_lo
	s_mov_b32 s0, exec_lo
                                        ; implicit-def: $vgpr6
	s_delay_alu instid0(VALU_DEP_2) | instskip(NEXT) | instid1(VALU_DEP_2)
	v_add_nc_u32_e32 v22, -1, v16
	v_and_b32_e32 v1, 0xfffff, v11
	s_delay_alu instid0(VALU_DEP_1) | instskip(SKIP_1) | instid1(VALU_DEP_4)
	v_add_co_u32 v1, vcc_lo, v1, v23
	v_add_co_ci_u32_e32 v2, vcc_lo, 0, v24, vcc_lo
	v_cmpx_ne_u32_e32 0, v22
	s_xor_b32 s0, exec_lo, s0
; %bb.42:                               ;   in Loop: Header=BB3_8 Depth=1
	s_delay_alu instid0(VALU_DEP_3) | instskip(SKIP_1) | instid1(VALU_DEP_2)
	v_and_b32_e32 v11, 0x1000000, v1
	v_bfe_u32 v6, v1, 24, 1
	v_cmp_eq_u64_e32 vcc_lo, 0, v[11:12]
	s_delay_alu instid0(VALU_DEP_2)
	v_lshrrev_b64 v[1:2], v6, v[1:2]
	v_cndmask_b32_e32 v6, v16, v22, vcc_lo
; %bb.43:                               ;   in Loop: Header=BB3_8 Depth=1
	s_and_not1_saveexec_b32 s0, s0
; %bb.44:                               ;   in Loop: Header=BB3_8 Depth=1
	s_delay_alu instid0(VALU_DEP_2)
	v_bfe_u32 v6, v1, 23, 1
; %bb.45:                               ;   in Loop: Header=BB3_8 Depth=1
	s_or_b32 exec_lo, exec_lo, s0
	s_delay_alu instid0(VALU_DEP_3) | instskip(NEXT) | instid1(VALU_DEP_2)
	v_lshrrev_b64 v[1:2], 20, v[1:2]
	v_cmp_gt_i32_e32 vcc_lo, 16, v6
	v_and_b32_e32 v5, 0x80, v5
	v_min_i32_e32 v11, 15, v6
	v_cmp_eq_u32_e64 s0, 0, v6
	v_dual_cndmask_b32 v2, 0, v2 :: v_dual_cndmask_b32 v1, 7, v1
	s_delay_alu instid0(VALU_DEP_3) | instskip(NEXT) | instid1(VALU_DEP_2)
	v_lshl_or_b32 v5, v11, 3, v5
	v_cmp_eq_u64_e32 vcc_lo, 0, v[1:2]
	s_delay_alu instid0(VALU_DEP_2)
	v_and_or_b32 v1, v1, 7, v5
	s_and_b32 s0, s0, vcc_lo
	s_delay_alu instid0(VALU_DEP_1) | instid1(SALU_CYCLE_1)
	v_cndmask_b32_e64 v1, v1, 0, s0
.LBB3_46:                               ;   in Loop: Header=BB3_8 Depth=1
	s_or_b32 exec_lo, exec_lo, s30
.LBB3_47:                               ;   in Loop: Header=BB3_8 Depth=1
	s_and_not1_saveexec_b32 s0, s29
	s_delay_alu instid0(SALU_CYCLE_1)
	s_or_b32 exec_lo, exec_lo, s0
.LBB3_48:                               ;   in Loop: Header=BB3_8 Depth=1
	s_and_not1_saveexec_b32 s0, s28
	s_delay_alu instid0(SALU_CYCLE_1) | instskip(SKIP_2) | instid1(VALU_DEP_1)
	s_or_b32 exec_lo, exec_lo, s0
	v_cvt_f32_f16_e64 v2, -v7
	s_mov_b32 s0, exec_lo
	v_mul_f32_e32 v5, 0x3fb8aa3b, v2
	v_cmp_ngt_f32_e32 vcc_lo, 0xc2ce8ed0, v2
	s_delay_alu instid0(VALU_DEP_2) | instskip(SKIP_1) | instid1(VALU_DEP_2)
	v_rndne_f32_e32 v6, v5
	v_fma_mix_f32 v11, -v7, s25, -v5 op_sel_hi:[1,0,0]
	v_sub_f32_e32 v5, v5, v6
	s_delay_alu instid0(VALU_DEP_2) | instskip(SKIP_1) | instid1(VALU_DEP_2)
	v_fma_mix_f32 v11, -v7, s26, v11 op_sel_hi:[1,0,0]
	v_cvt_i32_f32_e32 v6, v6
	v_add_f32_e32 v5, v5, v11
	s_delay_alu instid0(VALU_DEP_1) | instskip(SKIP_2) | instid1(VALU_DEP_1)
	v_exp_f32_e32 v5, v5
	s_waitcnt_depctr 0xfff
	v_ldexp_f32 v5, v5, v6
	v_cndmask_b32_e32 v5, 0, v5, vcc_lo
	v_cmp_nlt_f32_e32 vcc_lo, 0x42b17218, v2
	s_delay_alu instid0(VALU_DEP_2) | instskip(SKIP_1) | instid1(VALU_DEP_2)
	v_cndmask_b32_e32 v2, 0x7f800000, v5, vcc_lo
	v_cvt_f32_f16_e32 v5, v7
	v_add_f32_e32 v2, 1.0, v2
	s_delay_alu instid0(VALU_DEP_1) | instskip(NEXT) | instid1(VALU_DEP_1)
	v_div_scale_f32 v6, null, v2, v2, v5
	v_rcp_f32_e32 v11, v6
	s_waitcnt_depctr 0xfff
	v_fma_f32 v16, -v6, v11, 1.0
	s_delay_alu instid0(VALU_DEP_1) | instskip(SKIP_1) | instid1(VALU_DEP_1)
	v_fmac_f32_e32 v11, v16, v11
	v_div_scale_f32 v16, vcc_lo, v5, v2, v5
	v_mul_f32_e32 v22, v16, v11
	s_delay_alu instid0(VALU_DEP_1) | instskip(NEXT) | instid1(VALU_DEP_1)
	v_fma_f32 v23, -v6, v22, v16
	v_fmac_f32_e32 v22, v23, v11
	s_delay_alu instid0(VALU_DEP_1) | instskip(NEXT) | instid1(VALU_DEP_1)
	v_fma_f32 v6, -v6, v22, v16
	v_div_fmas_f32 v6, v6, v11, v22
	s_delay_alu instid0(VALU_DEP_1) | instskip(NEXT) | instid1(VALU_DEP_1)
	v_div_fixup_f32 v2, v6, v2, v5
	v_cvt_f16_f32_e32 v2, v2
	s_delay_alu instid0(VALU_DEP_1) | instskip(NEXT) | instid1(VALU_DEP_1)
	v_mul_f16_e32 v2, v3, v2
	v_cvt_f32_f16_e32 v2, v2
	s_delay_alu instid0(VALU_DEP_1) | instskip(NEXT) | instid1(VALU_DEP_1)
	v_mul_f32_e32 v2, v17, v2
	v_minmax_f32 v16, v2, s27, 0xc3600000
	s_delay_alu instid0(VALU_DEP_1) | instskip(SKIP_1) | instid1(VALU_DEP_2)
	v_lshrrev_b32_e32 v2, 24, v16
	v_and_b32_e32 v11, 0x7f800000, v16
	v_or_b32_e32 v5, 0x7f, v2
	s_delay_alu instid0(VALU_DEP_2)
	v_cmpx_ne_u64_e32 0x7f800000, v[11:12]
	s_xor_b32 s28, exec_lo, s0
	s_cbranch_execz .LBB3_58
; %bb.49:                               ;   in Loop: Header=BB3_8 Depth=1
	v_and_b32_e32 v11, 0x7fffffff, v16
	s_mov_b32 s0, exec_lo
	s_delay_alu instid0(VALU_DEP_1)
	v_cmpx_gt_u64_e32 0x43700001, v[11:12]
	s_xor_b32 s29, exec_lo, s0
	s_cbranch_execz .LBB3_57
; %bb.50:                               ;   in Loop: Header=BB3_8 Depth=1
	s_mov_b32 s30, exec_lo
	v_mov_b32_e32 v5, 0
	v_mov_b32_e32 v6, 0
	v_cmpx_ne_u32_e32 0, v16
	s_cbranch_execz .LBB3_56
; %bb.51:                               ;   in Loop: Header=BB3_8 Depth=1
	v_bfe_u32 v22, v16, 23, 8
	v_and_b32_e32 v6, 0x7fffff, v16
	s_delay_alu instid0(VALU_DEP_2) | instskip(SKIP_2) | instid1(VALU_DEP_3)
	v_sub_nc_u32_e64 v5, 0x78, v22 clamp
	v_cmp_eq_u32_e32 vcc_lo, 0, v22
	v_add_nc_u32_e32 v22, 0xffffff89, v22
	v_cndmask_b32_e64 v16, v5, 0x77, vcc_lo
	v_or_b32_e32 v5, 0x800000, v6
	s_delay_alu instid0(VALU_DEP_2) | instskip(NEXT) | instid1(VALU_DEP_2)
	v_add_nc_u32_e32 v23, 20, v16
	v_cndmask_b32_e32 v11, v5, v6, vcc_lo
	v_add_nc_u32_e32 v25, 19, v16
	s_delay_alu instid0(VALU_DEP_3) | instskip(NEXT) | instid1(VALU_DEP_3)
	v_lshlrev_b64 v[5:6], v23, -1
	v_lshrrev_b64 v[23:24], v16, v[11:12]
	s_delay_alu instid0(VALU_DEP_3) | instskip(SKIP_1) | instid1(VALU_DEP_4)
	v_lshlrev_b64 v[25:26], v25, 1
	v_mov_b32_e32 v6, v12
	v_not_b32_e32 v5, v5
	s_delay_alu instid0(VALU_DEP_1) | instskip(SKIP_1) | instid1(VALU_DEP_2)
	v_and_b32_e32 v5, v11, v5
	v_and_b32_e32 v11, 0x100000, v23
	v_cmp_eq_u64_e64 s0, v[5:6], v[25:26]
	s_delay_alu instid0(VALU_DEP_2) | instskip(SKIP_2) | instid1(VALU_DEP_3)
	v_cmp_eq_u64_e64 s1, 0, v[11:12]
	v_cndmask_b32_e64 v5, v22, 0xffffff8a, vcc_lo
	v_lshrrev_b32_e32 v6, 23, v23
	s_and_b32 vcc_lo, s1, s0
	s_delay_alu instid0(VALU_DEP_1) | instskip(SKIP_2) | instid1(VALU_DEP_2)
	v_add3_u32 v16, v5, v16, v6
	v_subrev_co_ci_u32_e32 v11, vcc_lo, 0, v23, vcc_lo
	s_mov_b32 s0, exec_lo
	v_add_nc_u32_e32 v22, -1, v16
	s_delay_alu instid0(VALU_DEP_2) | instskip(NEXT) | instid1(VALU_DEP_1)
	v_and_b32_e32 v5, 0xfffff, v11
                                        ; implicit-def: $vgpr11
	v_add_co_u32 v5, vcc_lo, v5, v23
	v_add_co_ci_u32_e32 v6, vcc_lo, 0, v24, vcc_lo
	s_delay_alu instid0(VALU_DEP_4)
	v_cmpx_ne_u32_e32 0, v22
	s_xor_b32 s0, exec_lo, s0
; %bb.52:                               ;   in Loop: Header=BB3_8 Depth=1
	s_delay_alu instid0(VALU_DEP_3) | instskip(SKIP_1) | instid1(VALU_DEP_2)
	v_and_b32_e32 v11, 0x1000000, v5
	v_bfe_u32 v23, v5, 24, 1
	v_cmp_eq_u64_e32 vcc_lo, 0, v[11:12]
	s_delay_alu instid0(VALU_DEP_2)
	v_lshrrev_b64 v[5:6], v23, v[5:6]
	v_cndmask_b32_e32 v11, v16, v22, vcc_lo
; %bb.53:                               ;   in Loop: Header=BB3_8 Depth=1
	s_and_not1_saveexec_b32 s0, s0
; %bb.54:                               ;   in Loop: Header=BB3_8 Depth=1
	s_delay_alu instid0(VALU_DEP_2)
	v_bfe_u32 v11, v5, 23, 1
; %bb.55:                               ;   in Loop: Header=BB3_8 Depth=1
	s_or_b32 exec_lo, exec_lo, s0
	s_delay_alu instid0(VALU_DEP_3) | instskip(NEXT) | instid1(VALU_DEP_2)
	v_lshrrev_b64 v[5:6], 20, v[5:6]
	v_cmp_gt_i32_e32 vcc_lo, 16, v11
	v_and_b32_e32 v2, 0x80, v2
	v_min_i32_e32 v16, 15, v11
	v_cmp_eq_u32_e64 s0, 0, v11
	v_dual_cndmask_b32 v5, 7, v5 :: v_dual_cndmask_b32 v6, 0, v6
	s_delay_alu instid0(VALU_DEP_3) | instskip(NEXT) | instid1(VALU_DEP_2)
	v_lshl_or_b32 v2, v16, 3, v2
	v_cmp_eq_u64_e32 vcc_lo, 0, v[5:6]
	s_delay_alu instid0(VALU_DEP_2)
	v_and_or_b32 v2, v5, 7, v2
	s_and_b32 s0, s0, vcc_lo
	s_delay_alu instid0(VALU_DEP_1) | instid1(SALU_CYCLE_1)
	v_cndmask_b32_e64 v5, v2, 0, s0
.LBB3_56:                               ;   in Loop: Header=BB3_8 Depth=1
	s_or_b32 exec_lo, exec_lo, s30
.LBB3_57:                               ;   in Loop: Header=BB3_8 Depth=1
	s_and_not1_saveexec_b32 s0, s29
	s_delay_alu instid0(SALU_CYCLE_1)
	s_or_b32 exec_lo, exec_lo, s0
.LBB3_58:                               ;   in Loop: Header=BB3_8 Depth=1
	s_and_not1_saveexec_b32 s0, s28
	s_delay_alu instid0(SALU_CYCLE_1) | instskip(SKIP_3) | instid1(VALU_DEP_2)
	s_or_b32 exec_lo, exec_lo, s0
	v_lshrrev_b32_e32 v2, 16, v7
	v_lshrrev_b32_e32 v3, 16, v3
	s_mov_b32 s0, exec_lo
	v_cvt_f32_f16_e64 v6, -v2
	v_cvt_f32_f16_e32 v2, v2
	s_delay_alu instid0(VALU_DEP_2) | instskip(SKIP_1) | instid1(VALU_DEP_2)
	v_mul_f32_e32 v11, 0x3fb8aa3b, v6
	v_cmp_ngt_f32_e32 vcc_lo, 0xc2ce8ed0, v6
	v_rndne_f32_e32 v16, v11
	v_fma_mix_f32 v22, -v7, s25, -v11 op_sel:[1,0,0] op_sel_hi:[1,0,0]
	s_delay_alu instid0(VALU_DEP_2) | instskip(NEXT) | instid1(VALU_DEP_2)
	v_sub_f32_e32 v11, v11, v16
	v_fma_mix_f32 v7, -v7, s26, v22 op_sel:[1,0,0] op_sel_hi:[1,0,0]
	s_delay_alu instid0(VALU_DEP_1) | instskip(SKIP_1) | instid1(VALU_DEP_2)
	v_add_f32_e32 v7, v11, v7
	v_cvt_i32_f32_e32 v11, v16
	v_exp_f32_e32 v7, v7
	s_waitcnt_depctr 0xfff
	v_ldexp_f32 v7, v7, v11
	s_delay_alu instid0(VALU_DEP_1) | instskip(SKIP_1) | instid1(VALU_DEP_2)
	v_cndmask_b32_e32 v7, 0, v7, vcc_lo
	v_cmp_nlt_f32_e32 vcc_lo, 0x42b17218, v6
	v_cndmask_b32_e32 v6, 0x7f800000, v7, vcc_lo
	s_delay_alu instid0(VALU_DEP_1) | instskip(NEXT) | instid1(VALU_DEP_1)
	v_add_f32_e32 v6, 1.0, v6
	v_div_scale_f32 v7, null, v6, v6, v2
	v_div_scale_f32 v22, vcc_lo, v2, v6, v2
	s_delay_alu instid0(VALU_DEP_2) | instskip(SKIP_2) | instid1(VALU_DEP_1)
	v_rcp_f32_e32 v11, v7
	s_waitcnt_depctr 0xfff
	v_fma_f32 v16, -v7, v11, 1.0
	v_fmac_f32_e32 v11, v16, v11
	s_delay_alu instid0(VALU_DEP_1) | instskip(NEXT) | instid1(VALU_DEP_1)
	v_mul_f32_e32 v16, v22, v11
	v_fma_f32 v23, -v7, v16, v22
	s_delay_alu instid0(VALU_DEP_1) | instskip(NEXT) | instid1(VALU_DEP_1)
	v_fmac_f32_e32 v16, v23, v11
	v_fma_f32 v7, -v7, v16, v22
	s_delay_alu instid0(VALU_DEP_1) | instskip(NEXT) | instid1(VALU_DEP_1)
	v_div_fmas_f32 v7, v7, v11, v16
	v_div_fixup_f32 v2, v7, v6, v2
	s_delay_alu instid0(VALU_DEP_1) | instskip(NEXT) | instid1(VALU_DEP_1)
	v_cvt_f16_f32_e32 v2, v2
	v_mul_f16_e32 v2, v3, v2
	s_delay_alu instid0(VALU_DEP_1) | instskip(NEXT) | instid1(VALU_DEP_1)
	v_cvt_f32_f16_e32 v2, v2
	v_mul_f32_e32 v2, v17, v2
	s_delay_alu instid0(VALU_DEP_1) | instskip(NEXT) | instid1(VALU_DEP_1)
	v_minmax_f32 v7, v2, s27, 0xc3600000
	v_lshrrev_b32_e32 v6, 24, v7
	v_and_b32_e32 v11, 0x7f800000, v7
	s_delay_alu instid0(VALU_DEP_2) | instskip(NEXT) | instid1(VALU_DEP_2)
	v_or_b32_e32 v2, 0x7f, v6
	v_cmpx_ne_u64_e32 0x7f800000, v[11:12]
	s_xor_b32 s28, exec_lo, s0
	s_cbranch_execz .LBB3_68
; %bb.59:                               ;   in Loop: Header=BB3_8 Depth=1
	v_and_b32_e32 v11, 0x7fffffff, v7
	s_mov_b32 s0, exec_lo
	s_delay_alu instid0(VALU_DEP_1)
	v_cmpx_gt_u64_e32 0x43700001, v[11:12]
	s_xor_b32 s29, exec_lo, s0
	s_cbranch_execz .LBB3_67
; %bb.60:                               ;   in Loop: Header=BB3_8 Depth=1
	s_mov_b32 s30, exec_lo
	v_mov_b32_e32 v2, 0
	v_mov_b32_e32 v3, 0
	v_cmpx_ne_u32_e32 0, v7
	s_cbranch_execz .LBB3_66
; %bb.61:                               ;   in Loop: Header=BB3_8 Depth=1
	v_bfe_u32 v16, v7, 23, 8
	v_and_b32_e32 v3, 0x7fffff, v7
	s_delay_alu instid0(VALU_DEP_2) | instskip(SKIP_2) | instid1(VALU_DEP_3)
	v_sub_nc_u32_e64 v2, 0x78, v16 clamp
	v_cmp_eq_u32_e32 vcc_lo, 0, v16
	v_add_nc_u32_e32 v16, 0xffffff89, v16
	v_cndmask_b32_e64 v7, v2, 0x77, vcc_lo
	v_or_b32_e32 v2, 0x800000, v3
	s_delay_alu instid0(VALU_DEP_2) | instskip(NEXT) | instid1(VALU_DEP_2)
	v_add_nc_u32_e32 v22, 20, v7
	v_cndmask_b32_e32 v11, v2, v3, vcc_lo
	s_delay_alu instid0(VALU_DEP_2) | instskip(SKIP_1) | instid1(VALU_DEP_3)
	v_lshlrev_b64 v[2:3], v22, -1
	v_add_nc_u32_e32 v22, 19, v7
	v_lshrrev_b64 v[23:24], v7, v[11:12]
	v_mov_b32_e32 v3, v12
	s_delay_alu instid0(VALU_DEP_3) | instskip(SKIP_1) | instid1(VALU_DEP_1)
	v_lshlrev_b64 v[25:26], v22, 1
	v_not_b32_e32 v2, v2
	v_and_b32_e32 v2, v11, v2
	v_and_b32_e32 v11, 0x100000, v23
	s_delay_alu instid0(VALU_DEP_2) | instskip(NEXT) | instid1(VALU_DEP_2)
	v_cmp_eq_u64_e64 s0, v[2:3], v[25:26]
	v_cmp_eq_u64_e64 s1, 0, v[11:12]
	v_cndmask_b32_e64 v2, v16, 0xffffff8a, vcc_lo
	v_lshrrev_b32_e32 v3, 23, v23
	s_delay_alu instid0(VALU_DEP_3) | instskip(NEXT) | instid1(VALU_DEP_1)
	s_and_b32 vcc_lo, s1, s0
	v_add3_u32 v16, v2, v7, v3
	v_subrev_co_ci_u32_e32 v11, vcc_lo, 0, v23, vcc_lo
	s_mov_b32 s0, exec_lo
                                        ; implicit-def: $vgpr7
	s_delay_alu instid0(VALU_DEP_2) | instskip(NEXT) | instid1(VALU_DEP_2)
	v_add_nc_u32_e32 v22, -1, v16
	v_and_b32_e32 v2, 0xfffff, v11
	s_delay_alu instid0(VALU_DEP_1) | instskip(SKIP_1) | instid1(VALU_DEP_4)
	v_add_co_u32 v2, vcc_lo, v2, v23
	v_add_co_ci_u32_e32 v3, vcc_lo, 0, v24, vcc_lo
	v_cmpx_ne_u32_e32 0, v22
	s_xor_b32 s0, exec_lo, s0
; %bb.62:                               ;   in Loop: Header=BB3_8 Depth=1
	s_delay_alu instid0(VALU_DEP_3) | instskip(SKIP_1) | instid1(VALU_DEP_2)
	v_and_b32_e32 v11, 0x1000000, v2
	v_bfe_u32 v7, v2, 24, 1
	v_cmp_eq_u64_e32 vcc_lo, 0, v[11:12]
	s_delay_alu instid0(VALU_DEP_2)
	v_lshrrev_b64 v[2:3], v7, v[2:3]
	v_cndmask_b32_e32 v7, v16, v22, vcc_lo
; %bb.63:                               ;   in Loop: Header=BB3_8 Depth=1
	s_and_not1_saveexec_b32 s0, s0
; %bb.64:                               ;   in Loop: Header=BB3_8 Depth=1
	s_delay_alu instid0(VALU_DEP_2)
	v_bfe_u32 v7, v2, 23, 1
; %bb.65:                               ;   in Loop: Header=BB3_8 Depth=1
	s_or_b32 exec_lo, exec_lo, s0
	s_delay_alu instid0(VALU_DEP_3) | instskip(NEXT) | instid1(VALU_DEP_2)
	v_lshrrev_b64 v[2:3], 20, v[2:3]
	v_cmp_gt_i32_e32 vcc_lo, 16, v7
	v_and_b32_e32 v6, 0x80, v6
	v_min_i32_e32 v11, 15, v7
	v_cmp_eq_u32_e64 s0, 0, v7
	v_dual_cndmask_b32 v3, 0, v3 :: v_dual_cndmask_b32 v2, 7, v2
	s_delay_alu instid0(VALU_DEP_3) | instskip(NEXT) | instid1(VALU_DEP_2)
	v_lshl_or_b32 v6, v11, 3, v6
	v_cmp_eq_u64_e32 vcc_lo, 0, v[2:3]
	s_delay_alu instid0(VALU_DEP_2)
	v_and_or_b32 v2, v2, 7, v6
	s_and_b32 s0, s0, vcc_lo
	s_delay_alu instid0(VALU_DEP_1) | instid1(SALU_CYCLE_1)
	v_cndmask_b32_e64 v2, v2, 0, s0
.LBB3_66:                               ;   in Loop: Header=BB3_8 Depth=1
	s_or_b32 exec_lo, exec_lo, s30
.LBB3_67:                               ;   in Loop: Header=BB3_8 Depth=1
	s_and_not1_saveexec_b32 s0, s29
	s_delay_alu instid0(SALU_CYCLE_1)
	s_or_b32 exec_lo, exec_lo, s0
.LBB3_68:                               ;   in Loop: Header=BB3_8 Depth=1
	s_and_not1_saveexec_b32 s0, s28
	s_delay_alu instid0(SALU_CYCLE_1) | instskip(SKIP_2) | instid1(VALU_DEP_1)
	s_or_b32 exec_lo, exec_lo, s0
	v_cvt_f32_f16_e64 v3, -v8
	s_mov_b32 s0, exec_lo
	v_mul_f32_e32 v6, 0x3fb8aa3b, v3
	v_cmp_ngt_f32_e32 vcc_lo, 0xc2ce8ed0, v3
	s_delay_alu instid0(VALU_DEP_2) | instskip(SKIP_1) | instid1(VALU_DEP_2)
	v_rndne_f32_e32 v7, v6
	v_fma_mix_f32 v11, -v8, s25, -v6 op_sel_hi:[1,0,0]
	v_sub_f32_e32 v6, v6, v7
	s_delay_alu instid0(VALU_DEP_2) | instskip(SKIP_1) | instid1(VALU_DEP_2)
	v_fma_mix_f32 v11, -v8, s26, v11 op_sel_hi:[1,0,0]
	v_cvt_i32_f32_e32 v7, v7
	v_add_f32_e32 v6, v6, v11
	s_delay_alu instid0(VALU_DEP_1) | instskip(SKIP_2) | instid1(VALU_DEP_1)
	v_exp_f32_e32 v6, v6
	s_waitcnt_depctr 0xfff
	v_ldexp_f32 v6, v6, v7
	v_cndmask_b32_e32 v6, 0, v6, vcc_lo
	v_cmp_nlt_f32_e32 vcc_lo, 0x42b17218, v3
	s_delay_alu instid0(VALU_DEP_2) | instskip(SKIP_1) | instid1(VALU_DEP_2)
	v_cndmask_b32_e32 v3, 0x7f800000, v6, vcc_lo
	v_cvt_f32_f16_e32 v6, v8
	v_add_f32_e32 v3, 1.0, v3
	s_delay_alu instid0(VALU_DEP_1) | instskip(NEXT) | instid1(VALU_DEP_1)
	v_div_scale_f32 v7, null, v3, v3, v6
	v_rcp_f32_e32 v11, v7
	s_waitcnt_depctr 0xfff
	v_fma_f32 v16, -v7, v11, 1.0
	s_delay_alu instid0(VALU_DEP_1) | instskip(SKIP_1) | instid1(VALU_DEP_1)
	v_fmac_f32_e32 v11, v16, v11
	v_div_scale_f32 v16, vcc_lo, v6, v3, v6
	v_mul_f32_e32 v22, v16, v11
	s_delay_alu instid0(VALU_DEP_1) | instskip(NEXT) | instid1(VALU_DEP_1)
	v_fma_f32 v23, -v7, v22, v16
	v_fmac_f32_e32 v22, v23, v11
	s_delay_alu instid0(VALU_DEP_1) | instskip(NEXT) | instid1(VALU_DEP_1)
	v_fma_f32 v7, -v7, v22, v16
	v_div_fmas_f32 v7, v7, v11, v22
	s_delay_alu instid0(VALU_DEP_1) | instskip(NEXT) | instid1(VALU_DEP_1)
	v_div_fixup_f32 v3, v7, v3, v6
	v_cvt_f16_f32_e32 v3, v3
	s_delay_alu instid0(VALU_DEP_1) | instskip(NEXT) | instid1(VALU_DEP_1)
	v_mul_f16_e32 v3, v4, v3
	v_cvt_f32_f16_e32 v3, v3
	s_delay_alu instid0(VALU_DEP_1) | instskip(NEXT) | instid1(VALU_DEP_1)
	v_mul_f32_e32 v3, v17, v3
	v_minmax_f32 v16, v3, s27, 0xc3600000
	s_delay_alu instid0(VALU_DEP_1) | instskip(SKIP_1) | instid1(VALU_DEP_2)
	v_lshrrev_b32_e32 v3, 24, v16
	v_and_b32_e32 v11, 0x7f800000, v16
	v_or_b32_e32 v6, 0x7f, v3
	s_delay_alu instid0(VALU_DEP_2)
	v_cmpx_ne_u64_e32 0x7f800000, v[11:12]
	s_xor_b32 s28, exec_lo, s0
	s_cbranch_execz .LBB3_78
; %bb.69:                               ;   in Loop: Header=BB3_8 Depth=1
	v_and_b32_e32 v11, 0x7fffffff, v16
	s_mov_b32 s0, exec_lo
	s_delay_alu instid0(VALU_DEP_1)
	v_cmpx_gt_u64_e32 0x43700001, v[11:12]
	s_xor_b32 s29, exec_lo, s0
	s_cbranch_execz .LBB3_77
; %bb.70:                               ;   in Loop: Header=BB3_8 Depth=1
	s_mov_b32 s30, exec_lo
	v_mov_b32_e32 v6, 0
	v_mov_b32_e32 v7, 0
	v_cmpx_ne_u32_e32 0, v16
	s_cbranch_execz .LBB3_76
; %bb.71:                               ;   in Loop: Header=BB3_8 Depth=1
	v_bfe_u32 v22, v16, 23, 8
	v_and_b32_e32 v7, 0x7fffff, v16
	s_delay_alu instid0(VALU_DEP_2) | instskip(SKIP_2) | instid1(VALU_DEP_3)
	v_sub_nc_u32_e64 v6, 0x78, v22 clamp
	v_cmp_eq_u32_e32 vcc_lo, 0, v22
	v_add_nc_u32_e32 v22, 0xffffff89, v22
	v_cndmask_b32_e64 v16, v6, 0x77, vcc_lo
	v_or_b32_e32 v6, 0x800000, v7
	s_delay_alu instid0(VALU_DEP_2) | instskip(NEXT) | instid1(VALU_DEP_2)
	v_add_nc_u32_e32 v23, 20, v16
	v_cndmask_b32_e32 v11, v6, v7, vcc_lo
	v_add_nc_u32_e32 v25, 19, v16
	s_delay_alu instid0(VALU_DEP_3) | instskip(NEXT) | instid1(VALU_DEP_3)
	v_lshlrev_b64 v[6:7], v23, -1
	v_lshrrev_b64 v[23:24], v16, v[11:12]
	s_delay_alu instid0(VALU_DEP_3) | instskip(NEXT) | instid1(VALU_DEP_3)
	v_lshlrev_b64 v[25:26], v25, 1
	v_not_b32_e32 v6, v6
	s_delay_alu instid0(VALU_DEP_1) | instskip(NEXT) | instid1(VALU_DEP_4)
	v_dual_mov_b32 v7, v12 :: v_dual_and_b32 v6, v11, v6
	v_and_b32_e32 v11, 0x100000, v23
	s_delay_alu instid0(VALU_DEP_2) | instskip(NEXT) | instid1(VALU_DEP_2)
	v_cmp_eq_u64_e64 s0, v[6:7], v[25:26]
	v_cmp_eq_u64_e64 s1, 0, v[11:12]
	v_cndmask_b32_e64 v6, v22, 0xffffff8a, vcc_lo
	v_lshrrev_b32_e32 v7, 23, v23
	s_delay_alu instid0(VALU_DEP_3) | instskip(NEXT) | instid1(VALU_DEP_1)
	s_and_b32 vcc_lo, s1, s0
	v_add3_u32 v16, v6, v16, v7
	v_subrev_co_ci_u32_e32 v11, vcc_lo, 0, v23, vcc_lo
	s_mov_b32 s0, exec_lo
	s_delay_alu instid0(VALU_DEP_2) | instskip(NEXT) | instid1(VALU_DEP_2)
	v_add_nc_u32_e32 v22, -1, v16
	v_and_b32_e32 v6, 0xfffff, v11
                                        ; implicit-def: $vgpr11
	s_delay_alu instid0(VALU_DEP_1) | instskip(SKIP_1) | instid1(VALU_DEP_4)
	v_add_co_u32 v6, vcc_lo, v6, v23
	v_add_co_ci_u32_e32 v7, vcc_lo, 0, v24, vcc_lo
	v_cmpx_ne_u32_e32 0, v22
	s_xor_b32 s0, exec_lo, s0
; %bb.72:                               ;   in Loop: Header=BB3_8 Depth=1
	s_delay_alu instid0(VALU_DEP_3) | instskip(SKIP_1) | instid1(VALU_DEP_2)
	v_and_b32_e32 v11, 0x1000000, v6
	v_bfe_u32 v23, v6, 24, 1
	v_cmp_eq_u64_e32 vcc_lo, 0, v[11:12]
	s_delay_alu instid0(VALU_DEP_2)
	v_lshrrev_b64 v[6:7], v23, v[6:7]
	v_cndmask_b32_e32 v11, v16, v22, vcc_lo
; %bb.73:                               ;   in Loop: Header=BB3_8 Depth=1
	s_and_not1_saveexec_b32 s0, s0
; %bb.74:                               ;   in Loop: Header=BB3_8 Depth=1
	s_delay_alu instid0(VALU_DEP_2)
	v_bfe_u32 v11, v6, 23, 1
; %bb.75:                               ;   in Loop: Header=BB3_8 Depth=1
	s_or_b32 exec_lo, exec_lo, s0
	s_delay_alu instid0(VALU_DEP_3) | instskip(NEXT) | instid1(VALU_DEP_2)
	v_lshrrev_b64 v[6:7], 20, v[6:7]
	v_cmp_gt_i32_e32 vcc_lo, 16, v11
	v_and_b32_e32 v3, 0x80, v3
	v_min_i32_e32 v16, 15, v11
	v_cmp_eq_u32_e64 s0, 0, v11
	v_dual_cndmask_b32 v6, 7, v6 :: v_dual_cndmask_b32 v7, 0, v7
	s_delay_alu instid0(VALU_DEP_3) | instskip(NEXT) | instid1(VALU_DEP_2)
	v_lshl_or_b32 v3, v16, 3, v3
	v_cmp_eq_u64_e32 vcc_lo, 0, v[6:7]
	s_delay_alu instid0(VALU_DEP_2)
	v_and_or_b32 v3, v6, 7, v3
	s_and_b32 s0, s0, vcc_lo
	s_delay_alu instid0(VALU_DEP_1) | instid1(SALU_CYCLE_1)
	v_cndmask_b32_e64 v6, v3, 0, s0
.LBB3_76:                               ;   in Loop: Header=BB3_8 Depth=1
	s_or_b32 exec_lo, exec_lo, s30
.LBB3_77:                               ;   in Loop: Header=BB3_8 Depth=1
	s_and_not1_saveexec_b32 s0, s29
	s_delay_alu instid0(SALU_CYCLE_1)
	s_or_b32 exec_lo, exec_lo, s0
.LBB3_78:                               ;   in Loop: Header=BB3_8 Depth=1
	s_and_not1_saveexec_b32 s0, s28
	s_delay_alu instid0(SALU_CYCLE_1) | instskip(SKIP_3) | instid1(VALU_DEP_2)
	s_or_b32 exec_lo, exec_lo, s0
	v_lshrrev_b32_e32 v3, 16, v8
	v_lshrrev_b32_e32 v4, 16, v4
	s_mov_b32 s0, exec_lo
	v_cvt_f32_f16_e64 v7, -v3
	v_cvt_f32_f16_e32 v3, v3
	s_delay_alu instid0(VALU_DEP_2) | instskip(SKIP_1) | instid1(VALU_DEP_1)
	v_cmp_ngt_f32_e32 vcc_lo, 0xc2ce8ed0, v7
	v_mul_f32_e32 v11, 0x3fb8aa3b, v7
	v_rndne_f32_e32 v16, v11
	v_fma_mix_f32 v22, -v8, s25, -v11 op_sel:[1,0,0] op_sel_hi:[1,0,0]
	s_delay_alu instid0(VALU_DEP_2) | instskip(NEXT) | instid1(VALU_DEP_2)
	v_sub_f32_e32 v11, v11, v16
	v_fma_mix_f32 v8, -v8, s26, v22 op_sel:[1,0,0] op_sel_hi:[1,0,0]
	s_delay_alu instid0(VALU_DEP_1) | instskip(SKIP_1) | instid1(VALU_DEP_2)
	v_add_f32_e32 v8, v11, v8
	v_cvt_i32_f32_e32 v11, v16
	v_exp_f32_e32 v8, v8
	s_waitcnt_depctr 0xfff
	v_ldexp_f32 v8, v8, v11
	s_delay_alu instid0(VALU_DEP_1) | instskip(SKIP_1) | instid1(VALU_DEP_2)
	v_cndmask_b32_e32 v8, 0, v8, vcc_lo
	v_cmp_nlt_f32_e32 vcc_lo, 0x42b17218, v7
	v_cndmask_b32_e32 v7, 0x7f800000, v8, vcc_lo
	s_delay_alu instid0(VALU_DEP_1) | instskip(NEXT) | instid1(VALU_DEP_1)
	v_add_f32_e32 v7, 1.0, v7
	v_div_scale_f32 v8, null, v7, v7, v3
	v_div_scale_f32 v22, vcc_lo, v3, v7, v3
	s_delay_alu instid0(VALU_DEP_2) | instskip(SKIP_2) | instid1(VALU_DEP_1)
	v_rcp_f32_e32 v11, v8
	s_waitcnt_depctr 0xfff
	v_fma_f32 v16, -v8, v11, 1.0
	v_fmac_f32_e32 v11, v16, v11
	s_delay_alu instid0(VALU_DEP_1) | instskip(NEXT) | instid1(VALU_DEP_1)
	v_mul_f32_e32 v16, v22, v11
	v_fma_f32 v23, -v8, v16, v22
	s_delay_alu instid0(VALU_DEP_1) | instskip(NEXT) | instid1(VALU_DEP_1)
	v_fmac_f32_e32 v16, v23, v11
	v_fma_f32 v8, -v8, v16, v22
	s_delay_alu instid0(VALU_DEP_1) | instskip(NEXT) | instid1(VALU_DEP_1)
	v_div_fmas_f32 v8, v8, v11, v16
	v_div_fixup_f32 v3, v8, v7, v3
	s_delay_alu instid0(VALU_DEP_1) | instskip(NEXT) | instid1(VALU_DEP_1)
	v_cvt_f16_f32_e32 v3, v3
	v_mul_f16_e32 v3, v4, v3
	s_delay_alu instid0(VALU_DEP_1) | instskip(NEXT) | instid1(VALU_DEP_1)
	v_cvt_f32_f16_e32 v3, v3
	v_mul_f32_e32 v3, v17, v3
	s_delay_alu instid0(VALU_DEP_1) | instskip(NEXT) | instid1(VALU_DEP_1)
	v_minmax_f32 v8, v3, s27, 0xc3600000
	v_and_b32_e32 v11, 0x7f800000, v8
	v_lshrrev_b32_e32 v7, 24, v8
	s_delay_alu instid0(VALU_DEP_1) | instskip(NEXT) | instid1(VALU_DEP_3)
	v_or_b32_e32 v3, 0x7f, v7
	v_cmpx_ne_u64_e32 0x7f800000, v[11:12]
	s_xor_b32 s28, exec_lo, s0
	s_cbranch_execz .LBB3_7
; %bb.79:                               ;   in Loop: Header=BB3_8 Depth=1
	v_and_b32_e32 v11, 0x7fffffff, v8
	s_mov_b32 s0, exec_lo
	s_delay_alu instid0(VALU_DEP_1)
	v_cmpx_gt_u64_e32 0x43700001, v[11:12]
	s_xor_b32 s29, exec_lo, s0
	s_cbranch_execz .LBB3_6
; %bb.80:                               ;   in Loop: Header=BB3_8 Depth=1
	s_mov_b32 s30, exec_lo
	v_mov_b32_e32 v3, 0
	v_mov_b32_e32 v4, 0
	v_cmpx_ne_u32_e32 0, v8
	s_cbranch_execz .LBB3_5
; %bb.81:                               ;   in Loop: Header=BB3_8 Depth=1
	v_bfe_u32 v16, v8, 23, 8
	v_and_b32_e32 v4, 0x7fffff, v8
	s_delay_alu instid0(VALU_DEP_2) | instskip(SKIP_2) | instid1(VALU_DEP_3)
	v_sub_nc_u32_e64 v3, 0x78, v16 clamp
	v_cmp_eq_u32_e32 vcc_lo, 0, v16
	v_add_nc_u32_e32 v16, 0xffffff89, v16
	v_cndmask_b32_e64 v8, v3, 0x77, vcc_lo
	v_or_b32_e32 v3, 0x800000, v4
	s_delay_alu instid0(VALU_DEP_2) | instskip(NEXT) | instid1(VALU_DEP_2)
	v_add_nc_u32_e32 v22, 20, v8
	v_cndmask_b32_e32 v11, v3, v4, vcc_lo
	s_delay_alu instid0(VALU_DEP_2) | instskip(SKIP_2) | instid1(VALU_DEP_4)
	v_lshlrev_b64 v[3:4], v22, -1
	v_mov_b32_e32 v4, v12
	v_add_nc_u32_e32 v22, 19, v8
	v_lshrrev_b64 v[23:24], v8, v[11:12]
	s_delay_alu instid0(VALU_DEP_4) | instskip(NEXT) | instid1(VALU_DEP_3)
	v_not_b32_e32 v3, v3
	v_lshlrev_b64 v[25:26], v22, 1
	s_delay_alu instid0(VALU_DEP_2) | instskip(NEXT) | instid1(VALU_DEP_4)
	v_and_b32_e32 v3, v11, v3
	v_and_b32_e32 v11, 0x100000, v23
	s_delay_alu instid0(VALU_DEP_2) | instskip(NEXT) | instid1(VALU_DEP_2)
	v_cmp_eq_u64_e64 s0, v[3:4], v[25:26]
	v_cmp_eq_u64_e64 s1, 0, v[11:12]
	v_cndmask_b32_e64 v3, v16, 0xffffff8a, vcc_lo
	v_lshrrev_b32_e32 v4, 23, v23
	s_delay_alu instid0(VALU_DEP_3) | instskip(NEXT) | instid1(VALU_DEP_1)
	s_and_b32 vcc_lo, s1, s0
	v_add3_u32 v16, v3, v8, v4
	v_subrev_co_ci_u32_e32 v11, vcc_lo, 0, v23, vcc_lo
	s_mov_b32 s0, exec_lo
                                        ; implicit-def: $vgpr8
	s_delay_alu instid0(VALU_DEP_2) | instskip(NEXT) | instid1(VALU_DEP_2)
	v_add_nc_u32_e32 v22, -1, v16
	v_and_b32_e32 v3, 0xfffff, v11
	s_delay_alu instid0(VALU_DEP_1) | instskip(SKIP_1) | instid1(VALU_DEP_4)
	v_add_co_u32 v3, vcc_lo, v3, v23
	v_add_co_ci_u32_e32 v4, vcc_lo, 0, v24, vcc_lo
	v_cmpx_ne_u32_e32 0, v22
	s_xor_b32 s0, exec_lo, s0
; %bb.82:                               ;   in Loop: Header=BB3_8 Depth=1
	s_delay_alu instid0(VALU_DEP_3) | instskip(SKIP_1) | instid1(VALU_DEP_2)
	v_and_b32_e32 v11, 0x1000000, v3
	v_bfe_u32 v8, v3, 24, 1
	v_cmp_eq_u64_e32 vcc_lo, 0, v[11:12]
	s_delay_alu instid0(VALU_DEP_2)
	v_lshrrev_b64 v[3:4], v8, v[3:4]
	v_cndmask_b32_e32 v8, v16, v22, vcc_lo
; %bb.83:                               ;   in Loop: Header=BB3_8 Depth=1
	s_and_not1_saveexec_b32 s0, s0
	s_cbranch_execz .LBB3_4
; %bb.84:                               ;   in Loop: Header=BB3_8 Depth=1
	s_delay_alu instid0(VALU_DEP_2)
	v_bfe_u32 v8, v3, 23, 1
	s_branch .LBB3_4
.LBB3_85:
	s_or_b32 exec_lo, exec_lo, s18
	s_sub_i32 s0, 8, s3
	s_delay_alu instid0(SALU_CYCLE_1)
	s_cmp_gt_i32 s2, s0
	s_cbranch_scc0 .LBB3_99
; %bb.86:
	v_add_nc_u32_e32 v0, s0, v0
	s_mov_b32 s0, exec_lo
	s_delay_alu instid0(VALU_DEP_1)
	v_cmpx_gt_i32_e64 s2, v0
	s_cbranch_execz .LBB3_99
; %bb.87:
	s_load_b32 s13, s[8:9], 0xc
	v_dual_mov_b32 v1, 0 :: v_dual_lshlrev_b32 v2, 1, v0
	s_ashr_i32 s3, s2, 31
	s_add_u32 s9, s4, s10
	s_addc_u32 s12, s5, s11
	s_lshl_b64 s[0:1], s[14:15], 2
	v_add_co_u32 v6, s6, s6, v2
	s_or_b32 s0, s0, 2
	s_lshl_b64 s[4:5], s[10:11], 2
	v_add_co_ci_u32_e64 v7, null, s7, 0, s6
	s_mul_i32 s7, s0, s17
	s_mul_hi_u32 s10, s0, s16
	v_dual_mov_b32 v3, v1 :: v_dual_mov_b32 v2, v0
	s_mul_i32 s1, s1, s16
	s_mul_i32 s6, s0, s16
	s_add_i32 s0, s10, s7
	s_waitcnt lgkmcnt(0)
	s_and_b32 s7, s13, 0xffff
	s_mov_b32 s8, 0
	s_add_i32 s10, s0, s1
	s_lshl_b32 s11, s7, 1
	s_mov_b32 s13, 0x3fb8aa3b
	s_mov_b32 s14, 0x32a5705f
	;; [unrolled: 1-line block ×3, first 2 shown]
	s_branch .LBB3_92
.LBB3_88:                               ;   in Loop: Header=BB3_92 Depth=1
	s_or_b32 exec_lo, exec_lo, s0
	s_delay_alu instid0(VALU_DEP_2) | instskip(NEXT) | instid1(VALU_DEP_2)
	v_lshrrev_b64 v[4:5], 20, v[4:5]
	v_cmp_gt_i32_e32 vcc_lo, 16, v0
	v_and_b32_e32 v8, 0x80, v8
	v_min_i32_e32 v9, 15, v0
	v_cmp_eq_u32_e64 s0, 0, v0
	v_dual_cndmask_b32 v5, 0, v5 :: v_dual_cndmask_b32 v4, 7, v4
	s_delay_alu instid0(VALU_DEP_3) | instskip(NEXT) | instid1(VALU_DEP_2)
	v_lshl_or_b32 v8, v9, 3, v8
	v_cmp_eq_u64_e32 vcc_lo, 0, v[4:5]
	s_delay_alu instid0(VALU_DEP_2)
	v_and_or_b32 v0, v4, 7, v8
	s_and_b32 s0, s0, vcc_lo
	s_delay_alu instid0(VALU_DEP_1) | instid1(SALU_CYCLE_1)
	v_cndmask_b32_e64 v4, v0, 0, s0
.LBB3_89:                               ;   in Loop: Header=BB3_92 Depth=1
	s_or_b32 exec_lo, exec_lo, s18
.LBB3_90:                               ;   in Loop: Header=BB3_92 Depth=1
	s_and_not1_saveexec_b32 s0, s17
	s_delay_alu instid0(SALU_CYCLE_1)
	s_or_b32 exec_lo, exec_lo, s0
.LBB3_91:                               ;   in Loop: Header=BB3_92 Depth=1
	s_and_not1_saveexec_b32 s0, s16
	s_delay_alu instid0(SALU_CYCLE_1)
	s_or_b32 exec_lo, exec_lo, s0
	v_add_co_u32 v8, vcc_lo, s9, v2
	v_add_co_ci_u32_e32 v9, vcc_lo, s12, v3, vcc_lo
	v_add_co_u32 v2, vcc_lo, v2, s7
	v_add_co_ci_u32_e32 v3, vcc_lo, 0, v3, vcc_lo
	v_add_co_u32 v6, s0, v6, s11
	s_delay_alu instid0(VALU_DEP_1) | instskip(NEXT) | instid1(VALU_DEP_3)
	v_add_co_ci_u32_e64 v7, s0, 0, v7, s0
	v_cmp_le_i64_e32 vcc_lo, s[2:3], v[2:3]
	global_store_b8 v[8:9], v4, off
	s_or_b32 s8, vcc_lo, s8
	s_delay_alu instid0(SALU_CYCLE_1)
	s_and_not1_b32 exec_lo, exec_lo, s8
	s_cbranch_execz .LBB3_99
.LBB3_92:                               ; =>This Inner Loop Header: Depth=1
	v_add_co_u32 v4, vcc_lo, v6, s4
	v_add_co_ci_u32_e32 v5, vcc_lo, s5, v7, vcc_lo
	s_mov_b32 s0, exec_lo
	global_load_u16 v0, v[4:5], off
	v_add_co_u32 v4, vcc_lo, v6, s6
	v_add_co_ci_u32_e32 v5, vcc_lo, s10, v7, vcc_lo
	global_load_u16 v4, v[4:5], off
	s_waitcnt vmcnt(1)
	v_cvt_f32_f16_e64 v5, -v0
	s_delay_alu instid0(VALU_DEP_1) | instskip(SKIP_1) | instid1(VALU_DEP_2)
	v_mul_f32_e32 v8, 0x3fb8aa3b, v5
	v_cmp_ngt_f32_e32 vcc_lo, 0xc2ce8ed0, v5
	v_fma_mix_f32 v9, -v0, s13, -v8 op_sel_hi:[1,0,0]
	v_rndne_f32_e32 v10, v8
	s_delay_alu instid0(VALU_DEP_2) | instskip(NEXT) | instid1(VALU_DEP_2)
	v_fma_mix_f32 v9, -v0, s14, v9 op_sel_hi:[1,0,0]
	v_sub_f32_e32 v8, v8, v10
	v_cvt_f32_f16_e32 v0, v0
	s_delay_alu instid0(VALU_DEP_2) | instskip(SKIP_1) | instid1(VALU_DEP_2)
	v_add_f32_e32 v8, v8, v9
	v_cvt_i32_f32_e32 v9, v10
	v_exp_f32_e32 v8, v8
	s_waitcnt_depctr 0xfff
	v_ldexp_f32 v8, v8, v9
	s_delay_alu instid0(VALU_DEP_1) | instskip(SKIP_1) | instid1(VALU_DEP_2)
	v_cndmask_b32_e32 v8, 0, v8, vcc_lo
	v_cmp_nlt_f32_e32 vcc_lo, 0x42b17218, v5
	v_cndmask_b32_e32 v5, 0x7f800000, v8, vcc_lo
	s_delay_alu instid0(VALU_DEP_1) | instskip(NEXT) | instid1(VALU_DEP_1)
	v_add_f32_e32 v5, 1.0, v5
	v_div_scale_f32 v8, null, v5, v5, v0
	s_delay_alu instid0(VALU_DEP_1) | instskip(SKIP_2) | instid1(VALU_DEP_1)
	v_rcp_f32_e32 v9, v8
	s_waitcnt_depctr 0xfff
	v_fma_f32 v10, -v8, v9, 1.0
	v_fmac_f32_e32 v9, v10, v9
	v_div_scale_f32 v10, vcc_lo, v0, v5, v0
	s_delay_alu instid0(VALU_DEP_1) | instskip(NEXT) | instid1(VALU_DEP_1)
	v_mul_f32_e32 v11, v10, v9
	v_fma_f32 v12, -v8, v11, v10
	s_delay_alu instid0(VALU_DEP_1) | instskip(NEXT) | instid1(VALU_DEP_1)
	v_fmac_f32_e32 v11, v12, v9
	v_fma_f32 v8, -v8, v11, v10
	s_delay_alu instid0(VALU_DEP_1) | instskip(NEXT) | instid1(VALU_DEP_1)
	v_div_fmas_f32 v8, v8, v9, v11
	v_div_fixup_f32 v0, v8, v5, v0
	s_delay_alu instid0(VALU_DEP_1) | instskip(SKIP_1) | instid1(VALU_DEP_1)
	v_cvt_f16_f32_e32 v0, v0
	s_waitcnt vmcnt(0)
	v_mul_f16_e32 v0, v4, v0
	s_delay_alu instid0(VALU_DEP_1) | instskip(NEXT) | instid1(VALU_DEP_1)
	v_cvt_f32_f16_e32 v0, v0
	v_mul_f32_e32 v0, v17, v0
	s_delay_alu instid0(VALU_DEP_1) | instskip(NEXT) | instid1(VALU_DEP_1)
	v_minmax_f32 v5, v0, s15, 0xc3600000
	v_lshrrev_b32_e32 v8, 24, v5
	v_and_b32_e32 v0, 0x7f800000, v5
	s_delay_alu instid0(VALU_DEP_2) | instskip(NEXT) | instid1(VALU_DEP_2)
	v_or_b32_e32 v4, 0x7f, v8
	v_cmpx_ne_u64_e32 0x7f800000, v[0:1]
	s_xor_b32 s16, exec_lo, s0
	s_cbranch_execz .LBB3_91
; %bb.93:                               ;   in Loop: Header=BB3_92 Depth=1
	v_and_b32_e32 v0, 0x7fffffff, v5
	s_mov_b32 s0, exec_lo
	s_delay_alu instid0(VALU_DEP_1)
	v_cmpx_gt_u64_e32 0x43700001, v[0:1]
	s_xor_b32 s17, exec_lo, s0
	s_cbranch_execz .LBB3_90
; %bb.94:                               ;   in Loop: Header=BB3_92 Depth=1
	v_mov_b32_e32 v4, 0
	s_mov_b32 s18, exec_lo
	v_cmpx_ne_u32_e32 0, v5
	s_cbranch_execz .LBB3_89
; %bb.95:                               ;   in Loop: Header=BB3_92 Depth=1
	v_bfe_u32 v13, v5, 23, 8
	v_and_b32_e32 v4, 0x7fffff, v5
	s_delay_alu instid0(VALU_DEP_2) | instskip(SKIP_2) | instid1(VALU_DEP_3)
	v_sub_nc_u32_e64 v0, 0x78, v13 clamp
	v_cmp_eq_u32_e32 vcc_lo, 0, v13
	v_add_nc_u32_e32 v13, 0xffffff89, v13
	v_cndmask_b32_e64 v14, v0, 0x77, vcc_lo
	v_or_b32_e32 v0, 0x800000, v4
	s_delay_alu instid0(VALU_DEP_1) | instskip(SKIP_1) | instid1(VALU_DEP_2)
	v_dual_cndmask_b32 v0, v0, v4 :: v_dual_add_nc_u32 v5, 20, v14
	v_add_nc_u32_e32 v9, 19, v14
	v_lshlrev_b64 v[4:5], v5, -1
	s_delay_alu instid0(VALU_DEP_3) | instskip(NEXT) | instid1(VALU_DEP_3)
	v_lshrrev_b64 v[11:12], v14, v[0:1]
	v_lshlrev_b64 v[9:10], v9, 1
	v_mov_b32_e32 v5, v1
	s_delay_alu instid0(VALU_DEP_4) | instskip(NEXT) | instid1(VALU_DEP_1)
	v_not_b32_e32 v4, v4
	v_and_b32_e32 v4, v0, v4
	v_and_b32_e32 v0, 0x100000, v11
	s_delay_alu instid0(VALU_DEP_2) | instskip(NEXT) | instid1(VALU_DEP_2)
	v_cmp_eq_u64_e64 s0, v[4:5], v[9:10]
	v_cmp_eq_u64_e64 s1, 0, v[0:1]
	v_cndmask_b32_e64 v0, v13, 0xffffff8a, vcc_lo
	v_lshrrev_b32_e32 v4, 23, v11
	s_delay_alu instid0(VALU_DEP_3) | instskip(NEXT) | instid1(VALU_DEP_1)
	s_and_b32 vcc_lo, s1, s0
	v_add3_u32 v9, v0, v14, v4
	v_subrev_co_ci_u32_e32 v5, vcc_lo, 0, v11, vcc_lo
	s_mov_b32 s0, exec_lo
	s_delay_alu instid0(VALU_DEP_2) | instskip(NEXT) | instid1(VALU_DEP_2)
	v_add_nc_u32_e32 v10, -1, v9
	v_and_b32_e32 v0, 0xfffff, v5
	s_delay_alu instid0(VALU_DEP_1) | instskip(SKIP_1) | instid1(VALU_DEP_4)
	v_add_co_u32 v4, vcc_lo, v0, v11
	v_add_co_ci_u32_e32 v5, vcc_lo, 0, v12, vcc_lo
                                        ; implicit-def: $vgpr0
	v_cmpx_ne_u32_e32 0, v10
	s_xor_b32 s0, exec_lo, s0
; %bb.96:                               ;   in Loop: Header=BB3_92 Depth=1
	s_delay_alu instid0(VALU_DEP_3) | instskip(SKIP_1) | instid1(VALU_DEP_2)
	v_and_b32_e32 v0, 0x1000000, v4
	v_bfe_u32 v11, v4, 24, 1
	v_cmp_eq_u64_e32 vcc_lo, 0, v[0:1]
	s_delay_alu instid0(VALU_DEP_2)
	v_lshrrev_b64 v[4:5], v11, v[4:5]
	v_cndmask_b32_e32 v0, v9, v10, vcc_lo
; %bb.97:                               ;   in Loop: Header=BB3_92 Depth=1
	s_and_not1_saveexec_b32 s0, s0
	s_cbranch_execz .LBB3_88
; %bb.98:                               ;   in Loop: Header=BB3_92 Depth=1
	s_delay_alu instid0(VALU_DEP_2)
	v_bfe_u32 v0, v4, 23, 1
	s_branch .LBB3_88
.LBB3_99:
	s_nop 0
	s_sendmsg sendmsg(MSG_DEALLOC_VGPRS)
	s_endpgm
	.section	.rodata,"a",@progbits
	.p2align	6, 0x0
	.amdhsa_kernel _ZN4vllm24act_and_mul_quant_kernelIN3c104HalfETnPFT_RKS3_EXadL_ZNS_11silu_kernelIS2_EES3_S5_EENS1_15Float8_e4m3fnuzEEEvPT1_PS4_PKfi
		.amdhsa_group_segment_fixed_size 0
		.amdhsa_private_segment_fixed_size 0
		.amdhsa_kernarg_size 288
		.amdhsa_user_sgpr_count 14
		.amdhsa_user_sgpr_dispatch_ptr 0
		.amdhsa_user_sgpr_queue_ptr 0
		.amdhsa_user_sgpr_kernarg_segment_ptr 1
		.amdhsa_user_sgpr_dispatch_id 0
		.amdhsa_user_sgpr_private_segment_size 0
		.amdhsa_wavefront_size32 1
		.amdhsa_uses_dynamic_stack 0
		.amdhsa_enable_private_segment 0
		.amdhsa_system_sgpr_workgroup_id_x 1
		.amdhsa_system_sgpr_workgroup_id_y 1
		.amdhsa_system_sgpr_workgroup_id_z 0
		.amdhsa_system_sgpr_workgroup_info 0
		.amdhsa_system_vgpr_workitem_id 0
		.amdhsa_next_free_vgpr 28
		.amdhsa_next_free_sgpr 31
		.amdhsa_reserve_vcc 1
		.amdhsa_float_round_mode_32 0
		.amdhsa_float_round_mode_16_64 0
		.amdhsa_float_denorm_mode_32 3
		.amdhsa_float_denorm_mode_16_64 3
		.amdhsa_dx10_clamp 1
		.amdhsa_ieee_mode 1
		.amdhsa_fp16_overflow 0
		.amdhsa_workgroup_processor_mode 1
		.amdhsa_memory_ordered 1
		.amdhsa_forward_progress 0
		.amdhsa_shared_vgpr_count 0
		.amdhsa_exception_fp_ieee_invalid_op 0
		.amdhsa_exception_fp_denorm_src 0
		.amdhsa_exception_fp_ieee_div_zero 0
		.amdhsa_exception_fp_ieee_overflow 0
		.amdhsa_exception_fp_ieee_underflow 0
		.amdhsa_exception_fp_ieee_inexact 0
		.amdhsa_exception_int_div_zero 0
	.end_amdhsa_kernel
	.section	.text._ZN4vllm24act_and_mul_quant_kernelIN3c104HalfETnPFT_RKS3_EXadL_ZNS_11silu_kernelIS2_EES3_S5_EENS1_15Float8_e4m3fnuzEEEvPT1_PS4_PKfi,"axG",@progbits,_ZN4vllm24act_and_mul_quant_kernelIN3c104HalfETnPFT_RKS3_EXadL_ZNS_11silu_kernelIS2_EES3_S5_EENS1_15Float8_e4m3fnuzEEEvPT1_PS4_PKfi,comdat
.Lfunc_end3:
	.size	_ZN4vllm24act_and_mul_quant_kernelIN3c104HalfETnPFT_RKS3_EXadL_ZNS_11silu_kernelIS2_EES3_S5_EENS1_15Float8_e4m3fnuzEEEvPT1_PS4_PKfi, .Lfunc_end3-_ZN4vllm24act_and_mul_quant_kernelIN3c104HalfETnPFT_RKS3_EXadL_ZNS_11silu_kernelIS2_EES3_S5_EENS1_15Float8_e4m3fnuzEEEvPT1_PS4_PKfi
                                        ; -- End function
	.section	.AMDGPU.csdata,"",@progbits
; Kernel info:
; codeLenInByte = 8100
; NumSgprs: 33
; NumVgprs: 28
; ScratchSize: 0
; MemoryBound: 0
; FloatMode: 240
; IeeeMode: 1
; LDSByteSize: 0 bytes/workgroup (compile time only)
; SGPRBlocks: 4
; VGPRBlocks: 3
; NumSGPRsForWavesPerEU: 33
; NumVGPRsForWavesPerEU: 28
; Occupancy: 16
; WaveLimiterHint : 0
; COMPUTE_PGM_RSRC2:SCRATCH_EN: 0
; COMPUTE_PGM_RSRC2:USER_SGPR: 14
; COMPUTE_PGM_RSRC2:TRAP_HANDLER: 0
; COMPUTE_PGM_RSRC2:TGID_X_EN: 1
; COMPUTE_PGM_RSRC2:TGID_Y_EN: 1
; COMPUTE_PGM_RSRC2:TGID_Z_EN: 0
; COMPUTE_PGM_RSRC2:TIDIG_COMP_CNT: 0
	.section	.text._ZN4vllm24act_and_mul_quant_kernelIN3c108BFloat16ETnPFT_RKS3_EXadL_ZNS_11silu_kernelIS2_EES3_S5_EENS1_13Float8_e4m3fnEEEvPT1_PS4_PKfi,"axG",@progbits,_ZN4vllm24act_and_mul_quant_kernelIN3c108BFloat16ETnPFT_RKS3_EXadL_ZNS_11silu_kernelIS2_EES3_S5_EENS1_13Float8_e4m3fnEEEvPT1_PS4_PKfi,comdat
	.protected	_ZN4vllm24act_and_mul_quant_kernelIN3c108BFloat16ETnPFT_RKS3_EXadL_ZNS_11silu_kernelIS2_EES3_S5_EENS1_13Float8_e4m3fnEEEvPT1_PS4_PKfi ; -- Begin function _ZN4vllm24act_and_mul_quant_kernelIN3c108BFloat16ETnPFT_RKS3_EXadL_ZNS_11silu_kernelIS2_EES3_S5_EENS1_13Float8_e4m3fnEEEvPT1_PS4_PKfi
	.globl	_ZN4vllm24act_and_mul_quant_kernelIN3c108BFloat16ETnPFT_RKS3_EXadL_ZNS_11silu_kernelIS2_EES3_S5_EENS1_13Float8_e4m3fnEEEvPT1_PS4_PKfi
	.p2align	8
	.type	_ZN4vllm24act_and_mul_quant_kernelIN3c108BFloat16ETnPFT_RKS3_EXadL_ZNS_11silu_kernelIS2_EES3_S5_EENS1_13Float8_e4m3fnEEEvPT1_PS4_PKfi,@function
_ZN4vllm24act_and_mul_quant_kernelIN3c108BFloat16ETnPFT_RKS3_EXadL_ZNS_11silu_kernelIS2_EES3_S5_EENS1_13Float8_e4m3fnEEEvPT1_PS4_PKfi: ; @_ZN4vllm24act_and_mul_quant_kernelIN3c108BFloat16ETnPFT_RKS3_EXadL_ZNS_11silu_kernelIS2_EES3_S5_EENS1_13Float8_e4m3fnEEEvPT1_PS4_PKfi
; %bb.0:
	s_clause 0x2
	s_load_b32 s3, s[0:1], 0x24
	s_load_b32 s6, s[0:1], 0x18
	s_load_b128 s[16:19], s[0:1], 0x0
	s_add_u32 s4, s0, 32
	s_addc_u32 s5, s1, 0
	s_mov_b32 s2, s15
	s_mov_b32 s15, 0
	s_waitcnt lgkmcnt(0)
	s_abs_i32 s7, s3
	s_add_i32 s10, s6, s3
	v_cvt_f32_u32_e32 v1, s7
	s_sub_i32 s9, 0, s7
	s_add_i32 s10, s10, -1
	s_delay_alu instid0(SALU_CYCLE_1) | instskip(NEXT) | instid1(VALU_DEP_1)
	s_abs_i32 s11, s10
	v_rcp_iflag_f32_e32 v1, v1
	s_xor_b32 s3, s10, s3
	s_delay_alu instid0(SALU_CYCLE_1) | instskip(SKIP_2) | instid1(VALU_DEP_1)
	s_ashr_i32 s3, s3, 31
	s_waitcnt_depctr 0xfff
	v_mul_f32_e32 v1, 0x4f7ffffe, v1
	v_cvt_u32_f32_e32 v1, v1
	s_delay_alu instid0(VALU_DEP_1) | instskip(NEXT) | instid1(VALU_DEP_1)
	v_readfirstlane_b32 s8, v1
	s_mul_i32 s9, s9, s8
	s_delay_alu instid0(SALU_CYCLE_1) | instskip(NEXT) | instid1(SALU_CYCLE_1)
	s_mul_hi_u32 s9, s8, s9
	s_add_i32 s8, s8, s9
	s_delay_alu instid0(SALU_CYCLE_1) | instskip(NEXT) | instid1(SALU_CYCLE_1)
	s_mul_hi_u32 s8, s11, s8
	s_mul_i32 s9, s8, s7
	s_add_i32 s10, s8, 1
	s_sub_i32 s9, s11, s9
	s_delay_alu instid0(SALU_CYCLE_1)
	s_sub_i32 s11, s9, s7
	s_cmp_ge_u32 s9, s7
	s_cselect_b32 s8, s10, s8
	s_cselect_b32 s9, s11, s9
	s_add_i32 s10, s8, 1
	s_cmp_ge_u32 s9, s7
	s_cselect_b32 s7, s10, s8
	s_delay_alu instid0(SALU_CYCLE_1) | instskip(NEXT) | instid1(SALU_CYCLE_1)
	s_xor_b32 s7, s7, s3
	s_sub_i32 s3, s7, s3
	s_delay_alu instid0(SALU_CYCLE_1) | instskip(NEXT) | instid1(SALU_CYCLE_1)
	s_and_b32 s7, s3, 7
	s_cmp_eq_u32 s7, 0
	s_cbranch_scc1 .LBB4_2
; %bb.1:
	s_ashr_i32 s7, s3, 31
	s_delay_alu instid0(SALU_CYCLE_1) | instskip(NEXT) | instid1(SALU_CYCLE_1)
	s_lshr_b32 s7, s7, 29
	s_add_i32 s3, s3, s7
	s_delay_alu instid0(SALU_CYCLE_1) | instskip(NEXT) | instid1(SALU_CYCLE_1)
	s_and_b32 s3, s3, -8
	s_add_i32 s3, s3, 8
.LBB4_2:
	s_load_b64 s[0:1], s[0:1], 0x10
	s_mul_i32 s2, s3, s2
	s_ashr_i32 s7, s6, 31
	s_add_i32 s3, s2, s3
	s_mul_hi_u32 s9, s6, s14
	s_min_i32 s20, s3, s6
	s_mul_i32 s10, s7, s14
	s_abs_i32 s3, s20
	s_add_i32 s23, s9, s10
	v_cvt_f32_u32_e32 v1, s3
	s_mul_i32 s22, s6, s14
	s_delay_alu instid0(VALU_DEP_1)
	v_rcp_iflag_f32_e32 v1, v1
	s_waitcnt lgkmcnt(0)
	s_load_b32 s8, s[0:1], 0x0
	s_sub_i32 s1, 0, s3
	s_waitcnt_depctr 0xfff
	v_mul_f32_e32 v1, 0x4f7ffffe, v1
	s_delay_alu instid0(VALU_DEP_1) | instskip(NEXT) | instid1(VALU_DEP_1)
	v_cvt_u32_f32_e32 v1, v1
	v_readfirstlane_b32 s0, v1
	s_delay_alu instid0(VALU_DEP_1) | instskip(SKIP_4) | instid1(VALU_DEP_2)
	s_mul_i32 s1, s1, s0
	s_waitcnt lgkmcnt(0)
	v_div_scale_f32 v2, null, s8, s8, 1.0
	s_mul_hi_u32 s1, s0, s1
	v_div_scale_f32 v4, vcc_lo, 1.0, s8, 1.0
	v_rcp_f32_e32 v1, v2
	s_add_i32 s0, s0, s1
	s_delay_alu instid0(SALU_CYCLE_1) | instskip(NEXT) | instid1(SALU_CYCLE_1)
	s_lshr_b32 s0, s0, 29
	s_mul_i32 s0, s0, s3
	s_delay_alu instid0(SALU_CYCLE_1) | instskip(NEXT) | instid1(SALU_CYCLE_1)
	s_sub_i32 s0, 8, s0
	s_sub_i32 s1, s0, s3
	s_waitcnt_depctr 0xfff
	v_fma_f32 v3, -v2, v1, 1.0
	s_cmp_ge_u32 s0, s3
	s_cselect_b32 s0, s1, s0
	s_delay_alu instid0(SALU_CYCLE_1) | instskip(NEXT) | instid1(VALU_DEP_1)
	s_sub_i32 s1, s0, s3
	v_fmac_f32_e32 v1, v3, v1
	s_cmp_ge_u32 s0, s3
	s_cselect_b32 s1, s1, s0
	s_delay_alu instid0(VALU_DEP_1) | instskip(SKIP_3) | instid1(VALU_DEP_1)
	v_mul_f32_e32 v3, v4, v1
	s_cmp_eq_u32 s1, 0
	s_cselect_b32 s0, -1, 0
	s_ashr_i32 s3, s2, 31
	v_fma_f32 v5, -v2, v3, v4
	s_lshr_b32 s3, s3, 29
	v_cndmask_b32_e64 v20, 0, 1, s0
	s_add_i32 s2, s2, s3
	s_delay_alu instid0(VALU_DEP_2) | instskip(SKIP_1) | instid1(SALU_CYCLE_1)
	v_fmac_f32_e32 v3, v5, v1
	s_ashr_i32 s0, s2, 3
	v_add_nc_u32_e32 v21, s0, v0
	s_delay_alu instid0(VALU_DEP_2) | instskip(NEXT) | instid1(VALU_DEP_1)
	v_fma_f32 v2, -v2, v3, v4
	v_div_fmas_f32 v1, v2, v1, v3
	s_delay_alu instid0(VALU_DEP_1)
	v_div_fixup_f32 v19, v1, s8, 1.0
	s_mov_b32 s8, exec_lo
	v_cmpx_lt_i32_e64 v21, v20
	s_cbranch_execz .LBB4_133
; %bb.3:
	s_load_b32 s12, s[4:5], 0xc
	s_ashr_i32 s13, s0, 31
	v_add_co_u32 v1, s0, s0, v0
	s_delay_alu instid0(VALU_DEP_1)
	v_add_co_ci_u32_e64 v2, null, s13, 0, s0
	s_lshl_b64 s[10:11], s[14:15], 2
	s_lshl_b64 s[2:3], s[22:23], 2
	s_or_b32 s0, s10, 2
	s_mul_i32 s10, s11, s6
	s_mul_i32 s11, s0, s7
	s_mul_hi_u32 s13, s0, s6
	v_lshlrev_b64 v[3:4], 4, v[1:2]
	s_add_i32 s11, s13, s11
	v_lshlrev_b64 v[1:2], 3, v[1:2]
	s_add_i32 s10, s11, s10
	v_mov_b32_e32 v12, 0
	s_mov_b32 s9, 0
	v_add_co_u32 v22, vcc_lo, s18, v3
	s_waitcnt lgkmcnt(0)
	s_and_b32 s11, s12, 0xffff
	v_add_co_ci_u32_e32 v23, vcc_lo, s19, v4, vcc_lo
	s_lshl_b32 s12, s11, 4
	s_add_u32 s13, s16, s22
	s_addc_u32 s21, s17, s23
	v_add_co_u32 v9, vcc_lo, s13, v1
	v_add_co_ci_u32_e32 v10, vcc_lo, s21, v2, vcc_lo
	s_mul_i32 s13, s0, s6
	s_lshl_b32 s21, s11, 3
	s_mov_b32 s24, 0x43e00000
	s_branch .LBB4_5
.LBB4_4:                                ;   in Loop: Header=BB4_5 Depth=1
	s_or_b32 exec_lo, exec_lo, s0
	v_lshlrev_b32_e32 v3, 16, v6
	v_lshlrev_b32_e32 v4, 16, v15
	;; [unrolled: 1-line block ×5, first 2 shown]
	v_and_b32_e32 v3, 0xff0000, v3
	v_perm_b32 v1, v1, v4, 0x4020c0c
	v_and_b32_e32 v4, 0xff, v5
	v_and_b32_e32 v5, 0xff, v13
	;; [unrolled: 1-line block ×3, first 2 shown]
	v_or_b32_e32 v3, v6, v3
	v_and_or_b32 v1, 0xff00, v7, v1
	v_add_nc_u32_e32 v21, s11, v21
	v_add_co_u32 v22, vcc_lo, v22, s12
	s_delay_alu instid0(VALU_DEP_4) | instskip(NEXT) | instid1(VALU_DEP_4)
	v_or3_b32 v2, v3, v2, v4
	v_or_b32_e32 v1, v1, v5
	v_add_co_ci_u32_e32 v23, vcc_lo, 0, v23, vcc_lo
	v_cmp_ge_i32_e32 vcc_lo, v21, v20
	global_store_b64 v[9:10], v[1:2], off
	v_add_co_u32 v9, s0, v9, s21
	s_delay_alu instid0(VALU_DEP_1) | instskip(SKIP_1) | instid1(SALU_CYCLE_1)
	v_add_co_ci_u32_e64 v10, s0, 0, v10, s0
	s_or_b32 s9, vcc_lo, s9
	s_and_not1_b32 exec_lo, exec_lo, s9
	s_cbranch_execz .LBB4_133
.LBB4_5:                                ; =>This Inner Loop Header: Depth=1
	v_add_co_u32 v1, vcc_lo, v22, s2
	v_add_co_ci_u32_e32 v2, vcc_lo, s3, v23, vcc_lo
	s_mov_b32 s0, exec_lo
	global_load_b128 v[5:8], v[1:2], off
	v_add_co_u32 v1, vcc_lo, v22, s13
	v_add_co_ci_u32_e32 v2, vcc_lo, s10, v23, vcc_lo
	global_load_b128 v[1:4], v[1:2], off
	s_waitcnt vmcnt(1)
	v_lshlrev_b32_e32 v11, 16, v5
	s_delay_alu instid0(VALU_DEP_1) | instskip(SKIP_1) | instid1(VALU_DEP_2)
	v_xor_b32_e32 v13, 0x80000000, v11
	v_cmp_o_f32_e32 vcc_lo, v11, v11
	v_bfe_u32 v14, v13, 16, 1
	s_delay_alu instid0(VALU_DEP_1) | instskip(NEXT) | instid1(VALU_DEP_1)
	v_add3_u32 v13, v13, v14, 0x7fff
	v_and_b32_e32 v13, 0xffff0000, v13
	s_delay_alu instid0(VALU_DEP_1) | instskip(NEXT) | instid1(VALU_DEP_1)
	v_cndmask_b32_e32 v13, 0x7fc00000, v13, vcc_lo
	v_mul_f32_e32 v14, 0x3fb8aa3b, v13
	v_cmp_ngt_f32_e32 vcc_lo, 0xc2ce8ed0, v13
	s_delay_alu instid0(VALU_DEP_2) | instskip(SKIP_1) | instid1(VALU_DEP_1)
	v_fma_f32 v15, 0x3fb8aa3b, v13, -v14
	v_rndne_f32_e32 v16, v14
	v_dual_fmac_f32 v15, 0x32a5705f, v13 :: v_dual_sub_f32 v14, v14, v16
	s_delay_alu instid0(VALU_DEP_1) | instskip(SKIP_1) | instid1(VALU_DEP_2)
	v_add_f32_e32 v14, v14, v15
	v_cvt_i32_f32_e32 v15, v16
	v_exp_f32_e32 v14, v14
	s_waitcnt_depctr 0xfff
	v_ldexp_f32 v14, v14, v15
	s_delay_alu instid0(VALU_DEP_1) | instskip(SKIP_1) | instid1(VALU_DEP_2)
	v_cndmask_b32_e32 v14, 0, v14, vcc_lo
	v_cmp_nlt_f32_e32 vcc_lo, 0x42b17218, v13
	v_cndmask_b32_e32 v13, 0x7f800000, v14, vcc_lo
	s_delay_alu instid0(VALU_DEP_1) | instskip(NEXT) | instid1(VALU_DEP_1)
	v_add_f32_e32 v13, 1.0, v13
	v_div_scale_f32 v14, null, v13, v13, v11
	v_div_scale_f32 v17, vcc_lo, v11, v13, v11
	s_delay_alu instid0(VALU_DEP_2) | instskip(SKIP_2) | instid1(VALU_DEP_1)
	v_rcp_f32_e32 v15, v14
	s_waitcnt_depctr 0xfff
	v_fma_f32 v16, -v14, v15, 1.0
	v_fmac_f32_e32 v15, v16, v15
	s_delay_alu instid0(VALU_DEP_1) | instskip(NEXT) | instid1(VALU_DEP_1)
	v_mul_f32_e32 v16, v17, v15
	v_fma_f32 v18, -v14, v16, v17
	s_delay_alu instid0(VALU_DEP_1) | instskip(SKIP_1) | instid1(VALU_DEP_2)
	v_fmac_f32_e32 v16, v18, v15
	v_mov_b32_e32 v18, v12
	v_fma_f32 v14, -v14, v16, v17
	s_delay_alu instid0(VALU_DEP_1) | instskip(NEXT) | instid1(VALU_DEP_1)
	v_div_fmas_f32 v14, v14, v15, v16
	v_div_fixup_f32 v11, v14, v13, v11
	s_waitcnt vmcnt(0)
	v_lshlrev_b32_e32 v14, 16, v1
	s_delay_alu instid0(VALU_DEP_2) | instskip(SKIP_1) | instid1(VALU_DEP_2)
	v_bfe_u32 v13, v11, 16, 1
	v_cmp_o_f32_e32 vcc_lo, v11, v11
	v_add3_u32 v13, v11, v13, 0x7fff
	s_delay_alu instid0(VALU_DEP_1) | instskip(NEXT) | instid1(VALU_DEP_1)
	v_and_b32_e32 v13, 0xffff0000, v13
	v_cndmask_b32_e32 v11, 0x7fc00000, v13, vcc_lo
	s_delay_alu instid0(VALU_DEP_1) | instskip(NEXT) | instid1(VALU_DEP_1)
	v_mul_f32_e32 v11, v11, v14
	v_bfe_u32 v13, v11, 16, 1
	v_cmp_o_f32_e32 vcc_lo, v11, v11
	s_delay_alu instid0(VALU_DEP_2) | instskip(NEXT) | instid1(VALU_DEP_1)
	v_add3_u32 v13, v11, v13, 0x7fff
	v_and_b32_e32 v13, 0xffff0000, v13
	s_delay_alu instid0(VALU_DEP_1) | instskip(NEXT) | instid1(VALU_DEP_1)
	v_cndmask_b32_e32 v11, 0x7fc00000, v13, vcc_lo
	v_mul_f32_e32 v11, v19, v11
	s_delay_alu instid0(VALU_DEP_1) | instskip(NEXT) | instid1(VALU_DEP_1)
	v_minmax_f32 v16, v11, s24, 0xc3e00000
	v_lshrrev_b32_e32 v14, 24, v16
	v_and_b32_e32 v17, 0x7f800000, v16
	v_and_b32_e32 v11, 0x7fffff, v16
	s_delay_alu instid0(VALU_DEP_3) | instskip(NEXT) | instid1(VALU_DEP_1)
	v_and_b32_e32 v15, 0x80, v14
	v_or_b32_e32 v13, 0x7e, v15
	s_delay_alu instid0(VALU_DEP_4)
	v_cmpx_ne_u64_e32 0x7f800000, v[17:18]
	s_xor_b32 s25, exec_lo, s0
	s_cbranch_execz .LBB4_19
; %bb.6:                                ;   in Loop: Header=BB4_5 Depth=1
	v_dual_mov_b32 v18, v12 :: v_dual_and_b32 v17, 0x7fffffff, v16
	s_mov_b32 s0, exec_lo
	s_delay_alu instid0(VALU_DEP_1)
	v_cmpx_gt_u64_e32 0x43e00001, v[17:18]
	s_xor_b32 s26, exec_lo, s0
	s_cbranch_execz .LBB4_18
; %bb.7:                                ;   in Loop: Header=BB4_5 Depth=1
	s_mov_b32 s27, exec_lo
	v_mov_b32_e32 v13, 0
	v_mov_b32_e32 v14, 0
	v_cmpx_ne_u32_e32 0, v16
	s_cbranch_execz .LBB4_17
; %bb.8:                                ;   in Loop: Header=BB4_5 Depth=1
	v_bfe_u32 v16, v16, 23, 8
	s_delay_alu instid0(VALU_DEP_1) | instskip(SKIP_2) | instid1(VALU_DEP_3)
	v_sub_nc_u32_e64 v13, 0x79, v16 clamp
	v_cmp_eq_u32_e32 vcc_lo, 0, v16
	v_add_nc_u32_e32 v28, 0xffffff88, v16
	v_cndmask_b32_e64 v18, v13, 0x78, vcc_lo
	v_or_b32_e32 v13, 0x800000, v11
	s_delay_alu instid0(VALU_DEP_1) | instskip(SKIP_1) | instid1(VALU_DEP_2)
	v_dual_cndmask_b32 v11, v13, v11 :: v_dual_add_nc_u32 v14, 20, v18
	v_add_nc_u32_e32 v17, 19, v18
	v_lshlrev_b64 v[13:14], v14, -1
	s_delay_alu instid0(VALU_DEP_3) | instskip(NEXT) | instid1(VALU_DEP_2)
	v_lshrrev_b64 v[24:25], v18, v[11:12]
	v_not_b32_e32 v26, v14
	s_delay_alu instid0(VALU_DEP_3) | instskip(SKIP_1) | instid1(VALU_DEP_3)
	v_not_b32_e32 v27, v13
	v_lshlrev_b64 v[13:14], v17, 1
	v_and_b32_e32 v17, 0, v26
	s_delay_alu instid0(VALU_DEP_3) | instskip(SKIP_3) | instid1(VALU_DEP_4)
	v_and_b32_e32 v16, v11, v27
	v_and_b32_e32 v11, 0x100000, v24
	v_cndmask_b32_e64 v26, v28, 0xffffff89, vcc_lo
	v_lshrrev_b32_e32 v27, 23, v24
	v_cmp_eq_u64_e32 vcc_lo, v[16:17], v[13:14]
	s_delay_alu instid0(VALU_DEP_4) | instskip(NEXT) | instid1(VALU_DEP_3)
	v_cmp_eq_u64_e64 s0, 0, v[11:12]
	v_add3_u32 v16, v26, v18, v27
	s_delay_alu instid0(VALU_DEP_2) | instskip(NEXT) | instid1(VALU_DEP_1)
	s_and_b32 vcc_lo, s0, vcc_lo
	v_add_nc_u32_e32 v17, -1, v16
	v_subrev_co_ci_u32_e32 v11, vcc_lo, 0, v24, vcc_lo
	s_delay_alu instid0(VALU_DEP_1) | instskip(NEXT) | instid1(VALU_DEP_1)
	v_and_b32_e32 v11, 0xfffff, v11
	v_add_co_u32 v13, s0, v11, v24
	s_delay_alu instid0(VALU_DEP_1)
	v_add_co_ci_u32_e64 v14, s0, 0, v25, s0
	s_mov_b32 s0, exec_lo
                                        ; implicit-def: $vgpr11
	v_cmpx_ne_u32_e32 0, v17
	s_xor_b32 s0, exec_lo, s0
; %bb.9:                                ;   in Loop: Header=BB4_5 Depth=1
	v_and_b32_e32 v11, 0x1000000, v13
	v_bfe_u32 v18, v13, 24, 1
	s_delay_alu instid0(VALU_DEP_2) | instskip(NEXT) | instid1(VALU_DEP_2)
	v_cmp_eq_u64_e32 vcc_lo, 0, v[11:12]
	v_lshrrev_b64 v[13:14], v18, v[13:14]
	v_cndmask_b32_e32 v11, v16, v17, vcc_lo
; %bb.10:                               ;   in Loop: Header=BB4_5 Depth=1
	s_and_not1_saveexec_b32 s0, s0
; %bb.11:                               ;   in Loop: Header=BB4_5 Depth=1
	s_delay_alu instid0(VALU_DEP_2)
	v_bfe_u32 v11, v13, 23, 1
; %bb.12:                               ;   in Loop: Header=BB4_5 Depth=1
	s_or_b32 exec_lo, exec_lo, s0
	s_delay_alu instid0(VALU_DEP_3) | instskip(NEXT) | instid1(VALU_DEP_2)
	v_lshrrev_b64 v[13:14], 20, v[13:14]
	v_cmp_gt_i32_e32 vcc_lo, 16, v11
	v_cmp_ne_u32_e64 s0, 0, v11
	s_delay_alu instid0(VALU_DEP_3) | instskip(NEXT) | instid1(VALU_DEP_1)
	v_dual_cndmask_b32 v17, 0, v14 :: v_dual_cndmask_b32 v16, 7, v13
                                        ; implicit-def: $vgpr13_vgpr14
	v_cmp_ne_u64_e32 vcc_lo, 0, v[16:17]
	s_delay_alu instid0(VALU_DEP_3) | instskip(NEXT) | instid1(SALU_CYCLE_1)
	s_or_b32 s0, s0, vcc_lo
	s_and_saveexec_b32 s28, s0
	s_delay_alu instid0(SALU_CYCLE_1)
	s_xor_b32 s0, exec_lo, s28
; %bb.13:                               ;   in Loop: Header=BB4_5 Depth=1
	v_min_i32_e32 v11, 15, v11
	s_delay_alu instid0(VALU_DEP_1) | instskip(NEXT) | instid1(VALU_DEP_1)
	v_lshl_or_b32 v11, v11, 3, v15
                                        ; implicit-def: $vgpr15
	v_and_or_b32 v13, v16, 7, v11
; %bb.14:                               ;   in Loop: Header=BB4_5 Depth=1
	s_and_not1_saveexec_b32 s0, s0
; %bb.15:                               ;   in Loop: Header=BB4_5 Depth=1
	v_dual_mov_b32 v13, v15 :: v_dual_mov_b32 v14, v16
; %bb.16:                               ;   in Loop: Header=BB4_5 Depth=1
	s_or_b32 exec_lo, exec_lo, s0
.LBB4_17:                               ;   in Loop: Header=BB4_5 Depth=1
	s_delay_alu instid0(SALU_CYCLE_1)
	s_or_b32 exec_lo, exec_lo, s27
.LBB4_18:                               ;   in Loop: Header=BB4_5 Depth=1
	s_and_not1_saveexec_b32 s0, s26
	s_delay_alu instid0(SALU_CYCLE_1)
	s_or_b32 exec_lo, exec_lo, s0
                                        ; implicit-def: $vgpr14
.LBB4_19:                               ;   in Loop: Header=BB4_5 Depth=1
	s_and_not1_saveexec_b32 s0, s25
; %bb.20:                               ;   in Loop: Header=BB4_5 Depth=1
	v_cmp_eq_u64_e32 vcc_lo, 0, v[11:12]
	v_or_b32_e32 v14, 0x7f, v14
	s_delay_alu instid0(VALU_DEP_1)
	v_cndmask_b32_e32 v13, v14, v13, vcc_lo
; %bb.21:                               ;   in Loop: Header=BB4_5 Depth=1
	s_or_b32 exec_lo, exec_lo, s0
	v_and_b32_e32 v5, 0xffff0000, v5
	v_and_b32_e32 v1, 0xffff0000, v1
	s_mov_b32 s0, exec_lo
	s_delay_alu instid0(VALU_DEP_2) | instskip(SKIP_1) | instid1(VALU_DEP_2)
	v_xor_b32_e32 v11, 0x80000000, v5
	v_cmp_o_f32_e32 vcc_lo, v5, v5
	v_bfe_u32 v14, v11, 16, 1
	s_delay_alu instid0(VALU_DEP_1) | instskip(NEXT) | instid1(VALU_DEP_1)
	v_add3_u32 v11, v11, v14, 0x7fff
	v_and_b32_e32 v11, 0xffff0000, v11
	s_delay_alu instid0(VALU_DEP_1) | instskip(NEXT) | instid1(VALU_DEP_1)
	v_cndmask_b32_e32 v11, 0x7fc00000, v11, vcc_lo
	v_mul_f32_e32 v14, 0x3fb8aa3b, v11
	v_cmp_ngt_f32_e32 vcc_lo, 0xc2ce8ed0, v11
	s_delay_alu instid0(VALU_DEP_2) | instskip(SKIP_1) | instid1(VALU_DEP_1)
	v_fma_f32 v15, 0x3fb8aa3b, v11, -v14
	v_rndne_f32_e32 v16, v14
	v_dual_fmac_f32 v15, 0x32a5705f, v11 :: v_dual_sub_f32 v14, v14, v16
	s_delay_alu instid0(VALU_DEP_1) | instskip(SKIP_1) | instid1(VALU_DEP_2)
	v_add_f32_e32 v14, v14, v15
	v_cvt_i32_f32_e32 v15, v16
	v_exp_f32_e32 v14, v14
	s_waitcnt_depctr 0xfff
	v_ldexp_f32 v14, v14, v15
	s_delay_alu instid0(VALU_DEP_1) | instskip(SKIP_1) | instid1(VALU_DEP_2)
	v_cndmask_b32_e32 v14, 0, v14, vcc_lo
	v_cmp_nlt_f32_e32 vcc_lo, 0x42b17218, v11
	v_cndmask_b32_e32 v11, 0x7f800000, v14, vcc_lo
	s_delay_alu instid0(VALU_DEP_1) | instskip(NEXT) | instid1(VALU_DEP_1)
	v_add_f32_e32 v11, 1.0, v11
	v_div_scale_f32 v14, null, v11, v11, v5
	v_div_scale_f32 v17, vcc_lo, v5, v11, v5
	s_delay_alu instid0(VALU_DEP_2) | instskip(SKIP_2) | instid1(VALU_DEP_1)
	v_rcp_f32_e32 v15, v14
	s_waitcnt_depctr 0xfff
	v_fma_f32 v16, -v14, v15, 1.0
	v_fmac_f32_e32 v15, v16, v15
	s_delay_alu instid0(VALU_DEP_1) | instskip(NEXT) | instid1(VALU_DEP_1)
	v_mul_f32_e32 v16, v17, v15
	v_fma_f32 v18, -v14, v16, v17
	s_delay_alu instid0(VALU_DEP_1) | instskip(NEXT) | instid1(VALU_DEP_1)
	v_fmac_f32_e32 v16, v18, v15
	v_fma_f32 v14, -v14, v16, v17
	v_mov_b32_e32 v17, v12
	s_delay_alu instid0(VALU_DEP_2) | instskip(NEXT) | instid1(VALU_DEP_1)
	v_div_fmas_f32 v14, v14, v15, v16
	v_div_fixup_f32 v5, v14, v11, v5
	s_delay_alu instid0(VALU_DEP_1) | instskip(SKIP_1) | instid1(VALU_DEP_2)
	v_bfe_u32 v11, v5, 16, 1
	v_cmp_o_f32_e32 vcc_lo, v5, v5
	v_add3_u32 v11, v5, v11, 0x7fff
	s_delay_alu instid0(VALU_DEP_1) | instskip(NEXT) | instid1(VALU_DEP_1)
	v_and_b32_e32 v11, 0xffff0000, v11
	v_cndmask_b32_e32 v5, 0x7fc00000, v11, vcc_lo
	s_delay_alu instid0(VALU_DEP_1) | instskip(NEXT) | instid1(VALU_DEP_1)
	v_mul_f32_e32 v1, v5, v1
	v_bfe_u32 v5, v1, 16, 1
	v_cmp_o_f32_e32 vcc_lo, v1, v1
	s_delay_alu instid0(VALU_DEP_2) | instskip(NEXT) | instid1(VALU_DEP_1)
	v_add3_u32 v5, v1, v5, 0x7fff
	v_and_b32_e32 v5, 0xffff0000, v5
	s_delay_alu instid0(VALU_DEP_1) | instskip(NEXT) | instid1(VALU_DEP_1)
	v_cndmask_b32_e32 v1, 0x7fc00000, v5, vcc_lo
	v_mul_f32_e32 v1, v19, v1
	s_delay_alu instid0(VALU_DEP_1) | instskip(NEXT) | instid1(VALU_DEP_1)
	v_minmax_f32 v5, v1, s24, 0xc3e00000
	v_lshrrev_b32_e32 v15, 24, v5
	v_and_b32_e32 v16, 0x7f800000, v5
	v_and_b32_e32 v11, 0x7fffff, v5
	s_delay_alu instid0(VALU_DEP_3) | instskip(NEXT) | instid1(VALU_DEP_1)
	v_and_b32_e32 v1, 0x80, v15
	v_or_b32_e32 v14, 0x7e, v1
	s_delay_alu instid0(VALU_DEP_4)
	v_cmpx_ne_u64_e32 0x7f800000, v[16:17]
	s_xor_b32 s25, exec_lo, s0
	s_cbranch_execz .LBB4_35
; %bb.22:                               ;   in Loop: Header=BB4_5 Depth=1
	v_dual_mov_b32 v16, v12 :: v_dual_and_b32 v15, 0x7fffffff, v5
	s_delay_alu instid0(VALU_DEP_1) | instskip(SKIP_1) | instid1(SALU_CYCLE_1)
	v_cmp_gt_u64_e32 vcc_lo, 0x43e00001, v[15:16]
                                        ; kill: def $vgpr15_vgpr16 killed $sgpr0_sgpr1 killed $exec
	s_and_saveexec_b32 s0, vcc_lo
	s_xor_b32 s26, exec_lo, s0
	s_cbranch_execz .LBB4_34
; %bb.23:                               ;   in Loop: Header=BB4_5 Depth=1
	s_mov_b32 s27, exec_lo
	v_mov_b32_e32 v14, 0
	v_mov_b32_e32 v15, 0
	v_cmpx_ne_u32_e32 0, v5
	s_cbranch_execz .LBB4_33
; %bb.24:                               ;   in Loop: Header=BB4_5 Depth=1
	v_bfe_u32 v5, v5, 23, 8
	s_delay_alu instid0(VALU_DEP_1) | instskip(SKIP_2) | instid1(VALU_DEP_3)
	v_sub_nc_u32_e64 v14, 0x79, v5 clamp
	v_cmp_eq_u32_e32 vcc_lo, 0, v5
	v_add_nc_u32_e32 v5, 0xffffff88, v5
	v_cndmask_b32_e64 v18, v14, 0x78, vcc_lo
	v_or_b32_e32 v14, 0x800000, v11
	s_delay_alu instid0(VALU_DEP_3) | instskip(NEXT) | instid1(VALU_DEP_3)
	v_cndmask_b32_e64 v5, v5, 0xffffff89, vcc_lo
	v_add_nc_u32_e32 v15, 20, v18
	s_delay_alu instid0(VALU_DEP_3) | instskip(NEXT) | instid1(VALU_DEP_2)
	v_dual_cndmask_b32 v11, v14, v11 :: v_dual_add_nc_u32 v16, 19, v18
	v_lshlrev_b64 v[14:15], v15, -1
	s_delay_alu instid0(VALU_DEP_2) | instskip(NEXT) | instid1(VALU_DEP_2)
	v_lshrrev_b64 v[24:25], v18, v[11:12]
	v_not_b32_e32 v17, v15
	s_delay_alu instid0(VALU_DEP_3) | instskip(SKIP_1) | instid1(VALU_DEP_3)
	v_not_b32_e32 v26, v14
	v_lshlrev_b64 v[14:15], v16, 1
	v_and_b32_e32 v17, 0, v17
	s_delay_alu instid0(VALU_DEP_3) | instskip(SKIP_2) | instid1(VALU_DEP_3)
	v_and_b32_e32 v16, v11, v26
	v_and_b32_e32 v11, 0x100000, v24
	v_lshrrev_b32_e32 v26, 23, v24
	v_cmp_eq_u64_e32 vcc_lo, v[16:17], v[14:15]
	s_delay_alu instid0(VALU_DEP_3) | instskip(NEXT) | instid1(VALU_DEP_3)
	v_cmp_eq_u64_e64 s0, 0, v[11:12]
	v_add3_u32 v16, v5, v18, v26
	s_delay_alu instid0(VALU_DEP_1) | instskip(NEXT) | instid1(VALU_DEP_3)
	v_add_nc_u32_e32 v17, -1, v16
	s_and_b32 vcc_lo, s0, vcc_lo
	v_subrev_co_ci_u32_e32 v5, vcc_lo, 0, v24, vcc_lo
	s_delay_alu instid0(VALU_DEP_1) | instskip(NEXT) | instid1(VALU_DEP_1)
	v_and_b32_e32 v5, 0xfffff, v5
	v_add_co_u32 v14, s0, v5, v24
	s_delay_alu instid0(VALU_DEP_1)
	v_add_co_ci_u32_e64 v15, s0, 0, v25, s0
	s_mov_b32 s0, exec_lo
                                        ; implicit-def: $vgpr5
	v_cmpx_ne_u32_e32 0, v17
	s_xor_b32 s0, exec_lo, s0
; %bb.25:                               ;   in Loop: Header=BB4_5 Depth=1
	v_and_b32_e32 v11, 0x1000000, v14
	v_bfe_u32 v5, v14, 24, 1
	s_delay_alu instid0(VALU_DEP_2) | instskip(NEXT) | instid1(VALU_DEP_2)
	v_cmp_eq_u64_e32 vcc_lo, 0, v[11:12]
	v_lshrrev_b64 v[14:15], v5, v[14:15]
	v_cndmask_b32_e32 v5, v16, v17, vcc_lo
; %bb.26:                               ;   in Loop: Header=BB4_5 Depth=1
	s_and_not1_saveexec_b32 s0, s0
; %bb.27:                               ;   in Loop: Header=BB4_5 Depth=1
	s_delay_alu instid0(VALU_DEP_2)
	v_bfe_u32 v5, v14, 23, 1
; %bb.28:                               ;   in Loop: Header=BB4_5 Depth=1
	s_or_b32 exec_lo, exec_lo, s0
	s_delay_alu instid0(VALU_DEP_3) | instskip(NEXT) | instid1(VALU_DEP_2)
	v_lshrrev_b64 v[14:15], 20, v[14:15]
	v_cmp_gt_i32_e32 vcc_lo, 16, v5
	v_cmp_ne_u32_e64 s0, 0, v5
	s_delay_alu instid0(VALU_DEP_3) | instskip(NEXT) | instid1(VALU_DEP_1)
	v_dual_cndmask_b32 v17, 0, v15 :: v_dual_cndmask_b32 v16, 7, v14
                                        ; implicit-def: $vgpr14_vgpr15
	v_cmp_ne_u64_e32 vcc_lo, 0, v[16:17]
	s_delay_alu instid0(VALU_DEP_3) | instskip(NEXT) | instid1(SALU_CYCLE_1)
	s_or_b32 s0, s0, vcc_lo
	s_and_saveexec_b32 s28, s0
	s_delay_alu instid0(SALU_CYCLE_1)
	s_xor_b32 s0, exec_lo, s28
; %bb.29:                               ;   in Loop: Header=BB4_5 Depth=1
	v_min_i32_e32 v5, 15, v5
	s_delay_alu instid0(VALU_DEP_1) | instskip(NEXT) | instid1(VALU_DEP_1)
	v_lshl_or_b32 v1, v5, 3, v1
	v_and_or_b32 v14, v16, 7, v1
                                        ; implicit-def: $vgpr1
; %bb.30:                               ;   in Loop: Header=BB4_5 Depth=1
	s_and_not1_saveexec_b32 s0, s0
; %bb.31:                               ;   in Loop: Header=BB4_5 Depth=1
	v_dual_mov_b32 v15, v2 :: v_dual_mov_b32 v14, v1
; %bb.32:                               ;   in Loop: Header=BB4_5 Depth=1
	s_or_b32 exec_lo, exec_lo, s0
.LBB4_33:                               ;   in Loop: Header=BB4_5 Depth=1
	s_delay_alu instid0(SALU_CYCLE_1)
	s_or_b32 exec_lo, exec_lo, s27
.LBB4_34:                               ;   in Loop: Header=BB4_5 Depth=1
	s_and_not1_saveexec_b32 s0, s26
	s_delay_alu instid0(SALU_CYCLE_1)
	s_or_b32 exec_lo, exec_lo, s0
                                        ; implicit-def: $vgpr15
.LBB4_35:                               ;   in Loop: Header=BB4_5 Depth=1
	s_and_not1_saveexec_b32 s0, s25
; %bb.36:                               ;   in Loop: Header=BB4_5 Depth=1
	v_cmp_eq_u64_e32 vcc_lo, 0, v[11:12]
	v_or_b32_e32 v1, 0x7f, v15
	s_delay_alu instid0(VALU_DEP_1)
	v_cndmask_b32_e32 v14, v1, v14, vcc_lo
; %bb.37:                               ;   in Loop: Header=BB4_5 Depth=1
	s_or_b32 exec_lo, exec_lo, s0
	v_lshlrev_b32_e32 v1, 16, v6
	s_mov_b32 s0, exec_lo
	s_delay_alu instid0(VALU_DEP_1) | instskip(SKIP_1) | instid1(VALU_DEP_2)
	v_xor_b32_e32 v5, 0x80000000, v1
	v_cmp_o_f32_e32 vcc_lo, v1, v1
	v_bfe_u32 v11, v5, 16, 1
	s_delay_alu instid0(VALU_DEP_1) | instskip(NEXT) | instid1(VALU_DEP_1)
	v_add3_u32 v5, v5, v11, 0x7fff
	v_and_b32_e32 v5, 0xffff0000, v5
	s_delay_alu instid0(VALU_DEP_1) | instskip(NEXT) | instid1(VALU_DEP_1)
	v_cndmask_b32_e32 v5, 0x7fc00000, v5, vcc_lo
	v_mul_f32_e32 v11, 0x3fb8aa3b, v5
	v_cmp_ngt_f32_e32 vcc_lo, 0xc2ce8ed0, v5
	s_delay_alu instid0(VALU_DEP_2) | instskip(SKIP_1) | instid1(VALU_DEP_2)
	v_fma_f32 v15, 0x3fb8aa3b, v5, -v11
	v_rndne_f32_e32 v16, v11
	v_fmac_f32_e32 v15, 0x32a5705f, v5
	s_delay_alu instid0(VALU_DEP_2) | instskip(NEXT) | instid1(VALU_DEP_1)
	v_sub_f32_e32 v11, v11, v16
	v_add_f32_e32 v11, v11, v15
	v_cvt_i32_f32_e32 v15, v16
	s_delay_alu instid0(VALU_DEP_2) | instskip(SKIP_2) | instid1(VALU_DEP_1)
	v_exp_f32_e32 v11, v11
	s_waitcnt_depctr 0xfff
	v_ldexp_f32 v11, v11, v15
	v_cndmask_b32_e32 v11, 0, v11, vcc_lo
	v_cmp_nlt_f32_e32 vcc_lo, 0x42b17218, v5
	s_delay_alu instid0(VALU_DEP_2) | instskip(NEXT) | instid1(VALU_DEP_1)
	v_cndmask_b32_e32 v5, 0x7f800000, v11, vcc_lo
	v_add_f32_e32 v5, 1.0, v5
	s_delay_alu instid0(VALU_DEP_1) | instskip(SKIP_1) | instid1(VALU_DEP_2)
	v_div_scale_f32 v11, null, v5, v5, v1
	v_div_scale_f32 v17, vcc_lo, v1, v5, v1
	v_rcp_f32_e32 v15, v11
	s_waitcnt_depctr 0xfff
	v_fma_f32 v16, -v11, v15, 1.0
	s_delay_alu instid0(VALU_DEP_1) | instskip(NEXT) | instid1(VALU_DEP_1)
	v_fmac_f32_e32 v15, v16, v15
	v_mul_f32_e32 v16, v17, v15
	s_delay_alu instid0(VALU_DEP_1) | instskip(NEXT) | instid1(VALU_DEP_1)
	v_fma_f32 v18, -v11, v16, v17
	v_fmac_f32_e32 v16, v18, v15
	v_mov_b32_e32 v18, v12
	s_delay_alu instid0(VALU_DEP_2) | instskip(NEXT) | instid1(VALU_DEP_1)
	v_fma_f32 v11, -v11, v16, v17
	v_div_fmas_f32 v11, v11, v15, v16
	s_delay_alu instid0(VALU_DEP_1) | instskip(SKIP_1) | instid1(VALU_DEP_2)
	v_div_fixup_f32 v1, v11, v5, v1
	v_lshlrev_b32_e32 v11, 16, v2
	v_bfe_u32 v5, v1, 16, 1
	v_cmp_o_f32_e32 vcc_lo, v1, v1
	s_delay_alu instid0(VALU_DEP_2) | instskip(NEXT) | instid1(VALU_DEP_1)
	v_add3_u32 v5, v1, v5, 0x7fff
	v_and_b32_e32 v5, 0xffff0000, v5
	s_delay_alu instid0(VALU_DEP_1) | instskip(NEXT) | instid1(VALU_DEP_1)
	v_cndmask_b32_e32 v1, 0x7fc00000, v5, vcc_lo
	v_mul_f32_e32 v1, v1, v11
	s_delay_alu instid0(VALU_DEP_1) | instskip(SKIP_1) | instid1(VALU_DEP_2)
	v_bfe_u32 v5, v1, 16, 1
	v_cmp_o_f32_e32 vcc_lo, v1, v1
	v_add3_u32 v5, v1, v5, 0x7fff
	s_delay_alu instid0(VALU_DEP_1) | instskip(NEXT) | instid1(VALU_DEP_1)
	v_and_b32_e32 v5, 0xffff0000, v5
	v_cndmask_b32_e32 v1, 0x7fc00000, v5, vcc_lo
	s_delay_alu instid0(VALU_DEP_1) | instskip(NEXT) | instid1(VALU_DEP_1)
	v_mul_f32_e32 v1, v19, v1
	v_minmax_f32 v5, v1, s24, 0xc3e00000
	s_delay_alu instid0(VALU_DEP_1) | instskip(SKIP_2) | instid1(VALU_DEP_3)
	v_lshrrev_b32_e32 v16, 24, v5
	v_and_b32_e32 v17, 0x7f800000, v5
	v_and_b32_e32 v11, 0x7fffff, v5
	;; [unrolled: 1-line block ×3, first 2 shown]
	s_delay_alu instid0(VALU_DEP_1) | instskip(NEXT) | instid1(VALU_DEP_4)
	v_or_b32_e32 v15, 0x7e, v1
	v_cmpx_ne_u64_e32 0x7f800000, v[17:18]
	s_xor_b32 s25, exec_lo, s0
	s_cbranch_execz .LBB4_51
; %bb.38:                               ;   in Loop: Header=BB4_5 Depth=1
	v_dual_mov_b32 v17, v12 :: v_dual_and_b32 v16, 0x7fffffff, v5
	s_delay_alu instid0(VALU_DEP_1) | instskip(SKIP_1) | instid1(SALU_CYCLE_1)
	v_cmp_gt_u64_e32 vcc_lo, 0x43e00001, v[16:17]
                                        ; kill: def $vgpr16_vgpr17 killed $sgpr0_sgpr1 killed $exec
	s_and_saveexec_b32 s0, vcc_lo
	s_xor_b32 s26, exec_lo, s0
	s_cbranch_execz .LBB4_50
; %bb.39:                               ;   in Loop: Header=BB4_5 Depth=1
	s_mov_b32 s27, exec_lo
	v_mov_b32_e32 v15, 0
	v_mov_b32_e32 v16, 0
	v_cmpx_ne_u32_e32 0, v5
	s_cbranch_execz .LBB4_49
; %bb.40:                               ;   in Loop: Header=BB4_5 Depth=1
	v_bfe_u32 v5, v5, 23, 8
	s_delay_alu instid0(VALU_DEP_1) | instskip(SKIP_2) | instid1(VALU_DEP_3)
	v_sub_nc_u32_e64 v15, 0x79, v5 clamp
	v_cmp_eq_u32_e32 vcc_lo, 0, v5
	v_add_nc_u32_e32 v5, 0xffffff88, v5
	v_cndmask_b32_e64 v26, v15, 0x78, vcc_lo
	v_or_b32_e32 v15, 0x800000, v11
	s_delay_alu instid0(VALU_DEP_3) | instskip(NEXT) | instid1(VALU_DEP_2)
	v_cndmask_b32_e64 v5, v5, 0xffffff89, vcc_lo
	v_dual_cndmask_b32 v11, v15, v11 :: v_dual_add_nc_u32 v16, 20, v26
	v_add_nc_u32_e32 v17, 19, v26
	s_delay_alu instid0(VALU_DEP_2) | instskip(NEXT) | instid1(VALU_DEP_3)
	v_lshlrev_b64 v[15:16], v16, -1
	v_lshrrev_b64 v[24:25], v26, v[11:12]
	s_delay_alu instid0(VALU_DEP_2) | instskip(NEXT) | instid1(VALU_DEP_3)
	v_not_b32_e32 v18, v16
	v_not_b32_e32 v27, v15
	v_lshlrev_b64 v[15:16], v17, 1
	s_delay_alu instid0(VALU_DEP_3) | instskip(NEXT) | instid1(VALU_DEP_3)
	v_and_b32_e32 v18, 0, v18
	v_and_b32_e32 v17, v11, v27
	;; [unrolled: 1-line block ×3, first 2 shown]
	v_lshrrev_b32_e32 v27, 23, v24
	s_delay_alu instid0(VALU_DEP_3) | instskip(NEXT) | instid1(VALU_DEP_3)
	v_cmp_eq_u64_e32 vcc_lo, v[17:18], v[15:16]
	v_cmp_eq_u64_e64 s0, 0, v[11:12]
	s_delay_alu instid0(VALU_DEP_3) | instskip(NEXT) | instid1(VALU_DEP_1)
	v_add3_u32 v17, v5, v26, v27
	v_add_nc_u32_e32 v18, -1, v17
	s_delay_alu instid0(VALU_DEP_3) | instskip(SKIP_1) | instid1(VALU_DEP_1)
	s_and_b32 vcc_lo, s0, vcc_lo
	v_subrev_co_ci_u32_e32 v5, vcc_lo, 0, v24, vcc_lo
	v_and_b32_e32 v5, 0xfffff, v5
	s_delay_alu instid0(VALU_DEP_1) | instskip(NEXT) | instid1(VALU_DEP_1)
	v_add_co_u32 v15, s0, v5, v24
	v_add_co_ci_u32_e64 v16, s0, 0, v25, s0
	s_mov_b32 s0, exec_lo
                                        ; implicit-def: $vgpr5
	v_cmpx_ne_u32_e32 0, v18
	s_xor_b32 s0, exec_lo, s0
; %bb.41:                               ;   in Loop: Header=BB4_5 Depth=1
	v_and_b32_e32 v11, 0x1000000, v15
	v_bfe_u32 v5, v15, 24, 1
	s_delay_alu instid0(VALU_DEP_2) | instskip(NEXT) | instid1(VALU_DEP_2)
	v_cmp_eq_u64_e32 vcc_lo, 0, v[11:12]
	v_lshrrev_b64 v[15:16], v5, v[15:16]
	v_cndmask_b32_e32 v5, v17, v18, vcc_lo
; %bb.42:                               ;   in Loop: Header=BB4_5 Depth=1
	s_and_not1_saveexec_b32 s0, s0
; %bb.43:                               ;   in Loop: Header=BB4_5 Depth=1
	s_delay_alu instid0(VALU_DEP_2)
	v_bfe_u32 v5, v15, 23, 1
; %bb.44:                               ;   in Loop: Header=BB4_5 Depth=1
	s_or_b32 exec_lo, exec_lo, s0
	s_delay_alu instid0(VALU_DEP_3) | instskip(NEXT) | instid1(VALU_DEP_2)
	v_lshrrev_b64 v[15:16], 20, v[15:16]
	v_cmp_gt_i32_e32 vcc_lo, 16, v5
	v_cmp_ne_u32_e64 s0, 0, v5
	s_delay_alu instid0(VALU_DEP_3) | instskip(NEXT) | instid1(VALU_DEP_1)
	v_dual_cndmask_b32 v18, 0, v16 :: v_dual_cndmask_b32 v17, 7, v15
                                        ; implicit-def: $vgpr15_vgpr16
	v_cmp_ne_u64_e32 vcc_lo, 0, v[17:18]
	s_delay_alu instid0(VALU_DEP_3) | instskip(NEXT) | instid1(SALU_CYCLE_1)
	s_or_b32 s0, s0, vcc_lo
	s_and_saveexec_b32 s28, s0
	s_delay_alu instid0(SALU_CYCLE_1)
	s_xor_b32 s0, exec_lo, s28
; %bb.45:                               ;   in Loop: Header=BB4_5 Depth=1
	v_min_i32_e32 v5, 15, v5
	s_delay_alu instid0(VALU_DEP_1) | instskip(NEXT) | instid1(VALU_DEP_1)
	v_lshl_or_b32 v1, v5, 3, v1
	v_and_or_b32 v15, v17, 7, v1
                                        ; implicit-def: $vgpr1
; %bb.46:                               ;   in Loop: Header=BB4_5 Depth=1
	s_and_not1_saveexec_b32 s0, s0
; %bb.47:                               ;   in Loop: Header=BB4_5 Depth=1
	v_dual_mov_b32 v16, v2 :: v_dual_mov_b32 v15, v1
; %bb.48:                               ;   in Loop: Header=BB4_5 Depth=1
	s_or_b32 exec_lo, exec_lo, s0
.LBB4_49:                               ;   in Loop: Header=BB4_5 Depth=1
	s_delay_alu instid0(SALU_CYCLE_1)
	s_or_b32 exec_lo, exec_lo, s27
.LBB4_50:                               ;   in Loop: Header=BB4_5 Depth=1
	s_and_not1_saveexec_b32 s0, s26
	s_delay_alu instid0(SALU_CYCLE_1)
	s_or_b32 exec_lo, exec_lo, s0
                                        ; implicit-def: $vgpr16
.LBB4_51:                               ;   in Loop: Header=BB4_5 Depth=1
	s_and_not1_saveexec_b32 s0, s25
; %bb.52:                               ;   in Loop: Header=BB4_5 Depth=1
	v_cmp_eq_u64_e32 vcc_lo, 0, v[11:12]
	v_or_b32_e32 v1, 0x7f, v16
	s_delay_alu instid0(VALU_DEP_1)
	v_cndmask_b32_e32 v15, v1, v15, vcc_lo
; %bb.53:                               ;   in Loop: Header=BB4_5 Depth=1
	s_or_b32 exec_lo, exec_lo, s0
	v_and_b32_e32 v1, 0xffff0000, v6
	v_and_b32_e32 v2, 0xffff0000, v2
	s_delay_alu instid0(VALU_DEP_2) | instskip(SKIP_1) | instid1(VALU_DEP_2)
	v_xor_b32_e32 v5, 0x80000000, v1
	v_cmp_o_f32_e32 vcc_lo, v1, v1
	v_bfe_u32 v6, v5, 16, 1
	s_delay_alu instid0(VALU_DEP_1) | instskip(NEXT) | instid1(VALU_DEP_1)
	v_add3_u32 v5, v5, v6, 0x7fff
	v_and_b32_e32 v5, 0xffff0000, v5
	s_delay_alu instid0(VALU_DEP_1) | instskip(NEXT) | instid1(VALU_DEP_1)
	v_cndmask_b32_e32 v5, 0x7fc00000, v5, vcc_lo
	v_mul_f32_e32 v6, 0x3fb8aa3b, v5
	v_cmp_ngt_f32_e32 vcc_lo, 0xc2ce8ed0, v5
	s_delay_alu instid0(VALU_DEP_2) | instskip(SKIP_1) | instid1(VALU_DEP_1)
	v_fma_f32 v11, 0x3fb8aa3b, v5, -v6
	v_rndne_f32_e32 v16, v6
	v_dual_fmac_f32 v11, 0x32a5705f, v5 :: v_dual_sub_f32 v6, v6, v16
	s_delay_alu instid0(VALU_DEP_1) | instskip(SKIP_1) | instid1(VALU_DEP_2)
	v_add_f32_e32 v6, v6, v11
	v_cvt_i32_f32_e32 v11, v16
	v_exp_f32_e32 v6, v6
	s_waitcnt_depctr 0xfff
	v_ldexp_f32 v6, v6, v11
	s_delay_alu instid0(VALU_DEP_1) | instskip(SKIP_1) | instid1(VALU_DEP_2)
	v_cndmask_b32_e32 v6, 0, v6, vcc_lo
	v_cmp_nlt_f32_e32 vcc_lo, 0x42b17218, v5
	v_cndmask_b32_e32 v5, 0x7f800000, v6, vcc_lo
	s_delay_alu instid0(VALU_DEP_1) | instskip(NEXT) | instid1(VALU_DEP_1)
	v_add_f32_e32 v5, 1.0, v5
	v_div_scale_f32 v6, null, v5, v5, v1
	v_div_scale_f32 v17, vcc_lo, v1, v5, v1
	s_delay_alu instid0(VALU_DEP_2) | instskip(SKIP_2) | instid1(VALU_DEP_1)
	v_rcp_f32_e32 v11, v6
	s_waitcnt_depctr 0xfff
	v_fma_f32 v16, -v6, v11, 1.0
	v_fmac_f32_e32 v11, v16, v11
	s_delay_alu instid0(VALU_DEP_1) | instskip(NEXT) | instid1(VALU_DEP_1)
	v_mul_f32_e32 v16, v17, v11
	v_fma_f32 v18, -v6, v16, v17
	s_delay_alu instid0(VALU_DEP_1) | instskip(NEXT) | instid1(VALU_DEP_1)
	v_fmac_f32_e32 v16, v18, v11
	v_fma_f32 v6, -v6, v16, v17
	s_delay_alu instid0(VALU_DEP_1) | instskip(NEXT) | instid1(VALU_DEP_1)
	v_div_fmas_f32 v6, v6, v11, v16
	v_div_fixup_f32 v1, v6, v5, v1
	s_delay_alu instid0(VALU_DEP_1) | instskip(SKIP_1) | instid1(VALU_DEP_2)
	v_bfe_u32 v5, v1, 16, 1
	v_cmp_o_f32_e32 vcc_lo, v1, v1
	v_add3_u32 v5, v1, v5, 0x7fff
	s_delay_alu instid0(VALU_DEP_1) | instskip(NEXT) | instid1(VALU_DEP_1)
	v_and_b32_e32 v5, 0xffff0000, v5
	v_cndmask_b32_e32 v1, 0x7fc00000, v5, vcc_lo
	s_delay_alu instid0(VALU_DEP_1) | instskip(NEXT) | instid1(VALU_DEP_1)
	v_mul_f32_e32 v1, v1, v2
	v_bfe_u32 v2, v1, 16, 1
	v_cmp_o_f32_e32 vcc_lo, v1, v1
	s_delay_alu instid0(VALU_DEP_2) | instskip(NEXT) | instid1(VALU_DEP_1)
	v_add3_u32 v2, v1, v2, 0x7fff
	v_and_b32_e32 v2, 0xffff0000, v2
	s_delay_alu instid0(VALU_DEP_1) | instskip(NEXT) | instid1(VALU_DEP_1)
	v_cndmask_b32_e32 v1, 0x7fc00000, v2, vcc_lo
	v_mul_f32_e32 v1, v19, v1
	s_delay_alu instid0(VALU_DEP_1) | instskip(NEXT) | instid1(VALU_DEP_1)
	v_minmax_f32 v6, v1, s24, 0xc3e00000
	v_dual_mov_b32 v17, v12 :: v_dual_and_b32 v16, 0x7f800000, v6
	v_lshrrev_b32_e32 v2, 24, v6
	v_and_b32_e32 v11, 0x7fffff, v6
	s_delay_alu instid0(VALU_DEP_3) | instskip(NEXT) | instid1(VALU_DEP_3)
	v_cmp_ne_u64_e32 vcc_lo, 0x7f800000, v[16:17]
	v_and_b32_e32 v5, 0x80, v2
                                        ; kill: def $vgpr16_vgpr17 killed $sgpr0_sgpr1 killed $exec
	s_delay_alu instid0(VALU_DEP_1) | instskip(SKIP_1) | instid1(SALU_CYCLE_1)
	v_or_b32_e32 v1, 0x7e, v5
	s_and_saveexec_b32 s0, vcc_lo
	s_xor_b32 s25, exec_lo, s0
	s_cbranch_execz .LBB4_67
; %bb.54:                               ;   in Loop: Header=BB4_5 Depth=1
	v_dual_mov_b32 v17, v12 :: v_dual_and_b32 v16, 0x7fffffff, v6
	s_delay_alu instid0(VALU_DEP_1) | instskip(SKIP_1) | instid1(SALU_CYCLE_1)
	v_cmp_gt_u64_e32 vcc_lo, 0x43e00001, v[16:17]
                                        ; kill: def $vgpr16_vgpr17 killed $sgpr0_sgpr1 killed $exec
	s_and_saveexec_b32 s0, vcc_lo
	s_xor_b32 s26, exec_lo, s0
	s_cbranch_execz .LBB4_66
; %bb.55:                               ;   in Loop: Header=BB4_5 Depth=1
	s_mov_b32 s27, exec_lo
	v_mov_b32_e32 v1, 0
	v_mov_b32_e32 v2, 0
	v_cmpx_ne_u32_e32 0, v6
	s_cbranch_execz .LBB4_65
; %bb.56:                               ;   in Loop: Header=BB4_5 Depth=1
	v_bfe_u32 v6, v6, 23, 8
	s_delay_alu instid0(VALU_DEP_1) | instskip(SKIP_2) | instid1(VALU_DEP_3)
	v_sub_nc_u32_e64 v1, 0x79, v6 clamp
	v_cmp_eq_u32_e32 vcc_lo, 0, v6
	v_add_nc_u32_e32 v6, 0xffffff88, v6
	v_cndmask_b32_e64 v18, v1, 0x78, vcc_lo
	v_or_b32_e32 v1, 0x800000, v11
	s_delay_alu instid0(VALU_DEP_3) | instskip(NEXT) | instid1(VALU_DEP_2)
	v_cndmask_b32_e64 v6, v6, 0xffffff89, vcc_lo
	v_dual_cndmask_b32 v11, v1, v11 :: v_dual_add_nc_u32 v2, 20, v18
	v_add_nc_u32_e32 v16, 19, v18
	s_delay_alu instid0(VALU_DEP_2) | instskip(NEXT) | instid1(VALU_DEP_3)
	v_lshlrev_b64 v[1:2], v2, -1
	v_lshrrev_b64 v[24:25], v18, v[11:12]
	s_delay_alu instid0(VALU_DEP_2) | instskip(NEXT) | instid1(VALU_DEP_3)
	v_not_b32_e32 v17, v2
	v_not_b32_e32 v26, v1
	v_lshlrev_b64 v[1:2], v16, 1
	s_delay_alu instid0(VALU_DEP_3) | instskip(NEXT) | instid1(VALU_DEP_3)
	v_and_b32_e32 v17, 0, v17
	v_and_b32_e32 v16, v11, v26
	;; [unrolled: 1-line block ×3, first 2 shown]
	v_lshrrev_b32_e32 v26, 23, v24
	s_delay_alu instid0(VALU_DEP_3) | instskip(NEXT) | instid1(VALU_DEP_3)
	v_cmp_eq_u64_e32 vcc_lo, v[16:17], v[1:2]
	v_cmp_eq_u64_e64 s0, 0, v[11:12]
	s_delay_alu instid0(VALU_DEP_3) | instskip(NEXT) | instid1(VALU_DEP_1)
	v_add3_u32 v16, v6, v18, v26
	v_add_nc_u32_e32 v17, -1, v16
	s_delay_alu instid0(VALU_DEP_3) | instskip(SKIP_1) | instid1(VALU_DEP_1)
	s_and_b32 vcc_lo, s0, vcc_lo
	v_subrev_co_ci_u32_e32 v1, vcc_lo, 0, v24, vcc_lo
	v_and_b32_e32 v6, 0xfffff, v1
	s_delay_alu instid0(VALU_DEP_1) | instskip(NEXT) | instid1(VALU_DEP_1)
	v_add_co_u32 v1, s0, v6, v24
	v_add_co_ci_u32_e64 v2, s0, 0, v25, s0
	s_mov_b32 s0, exec_lo
                                        ; implicit-def: $vgpr6
	v_cmpx_ne_u32_e32 0, v17
	s_xor_b32 s0, exec_lo, s0
; %bb.57:                               ;   in Loop: Header=BB4_5 Depth=1
	v_and_b32_e32 v11, 0x1000000, v1
	v_bfe_u32 v6, v1, 24, 1
	s_delay_alu instid0(VALU_DEP_2) | instskip(NEXT) | instid1(VALU_DEP_2)
	v_cmp_eq_u64_e32 vcc_lo, 0, v[11:12]
	v_lshrrev_b64 v[1:2], v6, v[1:2]
	v_cndmask_b32_e32 v6, v16, v17, vcc_lo
; %bb.58:                               ;   in Loop: Header=BB4_5 Depth=1
	s_and_not1_saveexec_b32 s0, s0
; %bb.59:                               ;   in Loop: Header=BB4_5 Depth=1
	s_delay_alu instid0(VALU_DEP_2)
	v_bfe_u32 v6, v1, 23, 1
; %bb.60:                               ;   in Loop: Header=BB4_5 Depth=1
	s_or_b32 exec_lo, exec_lo, s0
	s_delay_alu instid0(VALU_DEP_3) | instskip(NEXT) | instid1(VALU_DEP_2)
	v_lshrrev_b64 v[1:2], 20, v[1:2]
	v_cmp_gt_i32_e32 vcc_lo, 16, v6
	v_cmp_ne_u32_e64 s0, 0, v6
	s_delay_alu instid0(VALU_DEP_3) | instskip(NEXT) | instid1(VALU_DEP_1)
	v_dual_cndmask_b32 v17, 0, v2 :: v_dual_cndmask_b32 v16, 7, v1
                                        ; implicit-def: $vgpr1_vgpr2
	v_cmp_ne_u64_e32 vcc_lo, 0, v[16:17]
	s_delay_alu instid0(VALU_DEP_3) | instskip(NEXT) | instid1(SALU_CYCLE_1)
	s_or_b32 s0, s0, vcc_lo
	s_and_saveexec_b32 s28, s0
	s_delay_alu instid0(SALU_CYCLE_1)
	s_xor_b32 s0, exec_lo, s28
; %bb.61:                               ;   in Loop: Header=BB4_5 Depth=1
	v_min_i32_e32 v1, 15, v6
	s_delay_alu instid0(VALU_DEP_1) | instskip(NEXT) | instid1(VALU_DEP_1)
	v_lshl_or_b32 v1, v1, 3, v5
                                        ; implicit-def: $vgpr5
	v_and_or_b32 v1, v16, 7, v1
; %bb.62:                               ;   in Loop: Header=BB4_5 Depth=1
	s_and_not1_saveexec_b32 s0, s0
; %bb.63:                               ;   in Loop: Header=BB4_5 Depth=1
	v_dual_mov_b32 v1, v5 :: v_dual_mov_b32 v2, v6
; %bb.64:                               ;   in Loop: Header=BB4_5 Depth=1
	s_or_b32 exec_lo, exec_lo, s0
.LBB4_65:                               ;   in Loop: Header=BB4_5 Depth=1
	s_delay_alu instid0(SALU_CYCLE_1)
	s_or_b32 exec_lo, exec_lo, s27
.LBB4_66:                               ;   in Loop: Header=BB4_5 Depth=1
	s_and_not1_saveexec_b32 s0, s26
	s_delay_alu instid0(SALU_CYCLE_1)
	s_or_b32 exec_lo, exec_lo, s0
                                        ; implicit-def: $vgpr2
.LBB4_67:                               ;   in Loop: Header=BB4_5 Depth=1
	s_and_not1_saveexec_b32 s0, s25
; %bb.68:                               ;   in Loop: Header=BB4_5 Depth=1
	v_cmp_eq_u64_e32 vcc_lo, 0, v[11:12]
	v_or_b32_e32 v2, 0x7f, v2
	s_delay_alu instid0(VALU_DEP_1)
	v_cndmask_b32_e32 v1, v2, v1, vcc_lo
; %bb.69:                               ;   in Loop: Header=BB4_5 Depth=1
	s_or_b32 exec_lo, exec_lo, s0
	v_lshlrev_b32_e32 v2, 16, v7
	s_mov_b32 s0, exec_lo
	s_delay_alu instid0(VALU_DEP_1) | instskip(SKIP_1) | instid1(VALU_DEP_2)
	v_xor_b32_e32 v5, 0x80000000, v2
	v_cmp_o_f32_e32 vcc_lo, v2, v2
	v_bfe_u32 v6, v5, 16, 1
	s_delay_alu instid0(VALU_DEP_1) | instskip(NEXT) | instid1(VALU_DEP_1)
	v_add3_u32 v5, v5, v6, 0x7fff
	v_and_b32_e32 v5, 0xffff0000, v5
	s_delay_alu instid0(VALU_DEP_1) | instskip(NEXT) | instid1(VALU_DEP_1)
	v_cndmask_b32_e32 v5, 0x7fc00000, v5, vcc_lo
	v_mul_f32_e32 v6, 0x3fb8aa3b, v5
	v_cmp_ngt_f32_e32 vcc_lo, 0xc2ce8ed0, v5
	s_delay_alu instid0(VALU_DEP_2) | instskip(SKIP_1) | instid1(VALU_DEP_1)
	v_fma_f32 v11, 0x3fb8aa3b, v5, -v6
	v_rndne_f32_e32 v16, v6
	v_dual_fmac_f32 v11, 0x32a5705f, v5 :: v_dual_sub_f32 v6, v6, v16
	s_delay_alu instid0(VALU_DEP_1) | instskip(SKIP_1) | instid1(VALU_DEP_2)
	v_add_f32_e32 v6, v6, v11
	v_cvt_i32_f32_e32 v11, v16
	v_exp_f32_e32 v6, v6
	s_waitcnt_depctr 0xfff
	v_ldexp_f32 v6, v6, v11
	s_delay_alu instid0(VALU_DEP_1) | instskip(SKIP_1) | instid1(VALU_DEP_2)
	v_cndmask_b32_e32 v6, 0, v6, vcc_lo
	v_cmp_nlt_f32_e32 vcc_lo, 0x42b17218, v5
	v_cndmask_b32_e32 v5, 0x7f800000, v6, vcc_lo
	s_delay_alu instid0(VALU_DEP_1) | instskip(NEXT) | instid1(VALU_DEP_1)
	v_add_f32_e32 v5, 1.0, v5
	v_div_scale_f32 v6, null, v5, v5, v2
	v_div_scale_f32 v17, vcc_lo, v2, v5, v2
	s_delay_alu instid0(VALU_DEP_2) | instskip(SKIP_2) | instid1(VALU_DEP_1)
	v_rcp_f32_e32 v11, v6
	s_waitcnt_depctr 0xfff
	v_fma_f32 v16, -v6, v11, 1.0
	v_fmac_f32_e32 v11, v16, v11
	s_delay_alu instid0(VALU_DEP_1) | instskip(NEXT) | instid1(VALU_DEP_1)
	v_mul_f32_e32 v16, v17, v11
	v_fma_f32 v18, -v6, v16, v17
	s_delay_alu instid0(VALU_DEP_1) | instskip(NEXT) | instid1(VALU_DEP_1)
	v_fmac_f32_e32 v16, v18, v11
	v_fma_f32 v6, -v6, v16, v17
	s_delay_alu instid0(VALU_DEP_1) | instskip(NEXT) | instid1(VALU_DEP_1)
	v_div_fmas_f32 v6, v6, v11, v16
	v_div_fixup_f32 v2, v6, v5, v2
	v_lshlrev_b32_e32 v6, 16, v3
	s_delay_alu instid0(VALU_DEP_2) | instskip(SKIP_1) | instid1(VALU_DEP_2)
	v_bfe_u32 v5, v2, 16, 1
	v_cmp_o_f32_e32 vcc_lo, v2, v2
	v_add3_u32 v5, v2, v5, 0x7fff
	s_delay_alu instid0(VALU_DEP_1) | instskip(NEXT) | instid1(VALU_DEP_1)
	v_and_b32_e32 v5, 0xffff0000, v5
	v_cndmask_b32_e32 v2, 0x7fc00000, v5, vcc_lo
	s_delay_alu instid0(VALU_DEP_1) | instskip(NEXT) | instid1(VALU_DEP_1)
	v_mul_f32_e32 v2, v2, v6
	v_bfe_u32 v5, v2, 16, 1
	s_delay_alu instid0(VALU_DEP_1) | instskip(NEXT) | instid1(VALU_DEP_1)
	v_add3_u32 v5, v2, v5, 0x7fff
	v_and_b32_e32 v5, 0xffff0000, v5
	v_cmp_o_f32_e32 vcc_lo, v2, v2
	s_delay_alu instid0(VALU_DEP_2) | instskip(NEXT) | instid1(VALU_DEP_1)
	v_cndmask_b32_e32 v2, 0x7fc00000, v5, vcc_lo
	v_mul_f32_e32 v2, v19, v2
	s_delay_alu instid0(VALU_DEP_1) | instskip(NEXT) | instid1(VALU_DEP_1)
	v_minmax_f32 v16, v2, s24, 0xc3e00000
	v_dual_mov_b32 v18, v12 :: v_dual_and_b32 v11, 0x7fffff, v16
	v_lshrrev_b32_e32 v6, 24, v16
	v_and_b32_e32 v17, 0x7f800000, v16
	s_delay_alu instid0(VALU_DEP_2) | instskip(NEXT) | instid1(VALU_DEP_1)
	v_and_b32_e32 v2, 0x80, v6
	v_or_b32_e32 v5, 0x7e, v2
	s_delay_alu instid0(VALU_DEP_3)
	v_cmpx_ne_u64_e32 0x7f800000, v[17:18]
	s_xor_b32 s25, exec_lo, s0
	s_cbranch_execz .LBB4_83
; %bb.70:                               ;   in Loop: Header=BB4_5 Depth=1
	v_dual_mov_b32 v18, v12 :: v_dual_and_b32 v17, 0x7fffffff, v16
	s_mov_b32 s0, exec_lo
	s_delay_alu instid0(VALU_DEP_1)
	v_cmpx_gt_u64_e32 0x43e00001, v[17:18]
	s_xor_b32 s26, exec_lo, s0
	s_cbranch_execz .LBB4_82
; %bb.71:                               ;   in Loop: Header=BB4_5 Depth=1
	s_mov_b32 s27, exec_lo
	v_mov_b32_e32 v5, 0
	v_mov_b32_e32 v6, 0
	v_cmpx_ne_u32_e32 0, v16
	s_cbranch_execz .LBB4_81
; %bb.72:                               ;   in Loop: Header=BB4_5 Depth=1
	v_bfe_u32 v16, v16, 23, 8
	s_delay_alu instid0(VALU_DEP_1) | instskip(SKIP_2) | instid1(VALU_DEP_3)
	v_sub_nc_u32_e64 v5, 0x79, v16 clamp
	v_cmp_eq_u32_e32 vcc_lo, 0, v16
	v_add_nc_u32_e32 v28, 0xffffff88, v16
	v_cndmask_b32_e64 v18, v5, 0x78, vcc_lo
	v_or_b32_e32 v5, 0x800000, v11
	s_delay_alu instid0(VALU_DEP_1) | instskip(SKIP_1) | instid1(VALU_DEP_2)
	v_dual_cndmask_b32 v11, v5, v11 :: v_dual_add_nc_u32 v6, 20, v18
	v_add_nc_u32_e32 v17, 19, v18
	v_lshlrev_b64 v[5:6], v6, -1
	s_delay_alu instid0(VALU_DEP_3) | instskip(NEXT) | instid1(VALU_DEP_2)
	v_lshrrev_b64 v[24:25], v18, v[11:12]
	v_not_b32_e32 v26, v6
	s_delay_alu instid0(VALU_DEP_3) | instskip(SKIP_1) | instid1(VALU_DEP_3)
	v_not_b32_e32 v27, v5
	v_lshlrev_b64 v[5:6], v17, 1
	v_and_b32_e32 v17, 0, v26
	s_delay_alu instid0(VALU_DEP_3) | instskip(SKIP_3) | instid1(VALU_DEP_4)
	v_and_b32_e32 v16, v11, v27
	v_and_b32_e32 v11, 0x100000, v24
	v_cndmask_b32_e64 v26, v28, 0xffffff89, vcc_lo
	v_lshrrev_b32_e32 v27, 23, v24
	v_cmp_eq_u64_e32 vcc_lo, v[16:17], v[5:6]
	s_delay_alu instid0(VALU_DEP_4) | instskip(NEXT) | instid1(VALU_DEP_3)
	v_cmp_eq_u64_e64 s0, 0, v[11:12]
	v_add3_u32 v16, v26, v18, v27
	s_delay_alu instid0(VALU_DEP_2) | instskip(NEXT) | instid1(VALU_DEP_1)
	s_and_b32 vcc_lo, s0, vcc_lo
	v_add_nc_u32_e32 v17, -1, v16
	v_subrev_co_ci_u32_e32 v5, vcc_lo, 0, v24, vcc_lo
	s_delay_alu instid0(VALU_DEP_1) | instskip(NEXT) | instid1(VALU_DEP_1)
	v_and_b32_e32 v11, 0xfffff, v5
	v_add_co_u32 v5, s0, v11, v24
	s_delay_alu instid0(VALU_DEP_1)
	v_add_co_ci_u32_e64 v6, s0, 0, v25, s0
	s_mov_b32 s0, exec_lo
                                        ; implicit-def: $vgpr11
	v_cmpx_ne_u32_e32 0, v17
	s_xor_b32 s0, exec_lo, s0
; %bb.73:                               ;   in Loop: Header=BB4_5 Depth=1
	v_and_b32_e32 v11, 0x1000000, v5
	v_bfe_u32 v18, v5, 24, 1
	s_delay_alu instid0(VALU_DEP_2) | instskip(NEXT) | instid1(VALU_DEP_2)
	v_cmp_eq_u64_e32 vcc_lo, 0, v[11:12]
	v_lshrrev_b64 v[5:6], v18, v[5:6]
	v_cndmask_b32_e32 v11, v16, v17, vcc_lo
; %bb.74:                               ;   in Loop: Header=BB4_5 Depth=1
	s_and_not1_saveexec_b32 s0, s0
; %bb.75:                               ;   in Loop: Header=BB4_5 Depth=1
	s_delay_alu instid0(VALU_DEP_2)
	v_bfe_u32 v11, v5, 23, 1
; %bb.76:                               ;   in Loop: Header=BB4_5 Depth=1
	s_or_b32 exec_lo, exec_lo, s0
	s_delay_alu instid0(VALU_DEP_3) | instskip(NEXT) | instid1(VALU_DEP_2)
	v_lshrrev_b64 v[5:6], 20, v[5:6]
	v_cmp_gt_i32_e32 vcc_lo, 16, v11
	v_cmp_ne_u32_e64 s0, 0, v11
	s_delay_alu instid0(VALU_DEP_3) | instskip(NEXT) | instid1(VALU_DEP_1)
	v_dual_cndmask_b32 v17, 0, v6 :: v_dual_cndmask_b32 v16, 7, v5
                                        ; implicit-def: $vgpr5_vgpr6
	v_cmp_ne_u64_e32 vcc_lo, 0, v[16:17]
	s_delay_alu instid0(VALU_DEP_3) | instskip(NEXT) | instid1(SALU_CYCLE_1)
	s_or_b32 s0, s0, vcc_lo
	s_and_saveexec_b32 s28, s0
	s_delay_alu instid0(SALU_CYCLE_1)
	s_xor_b32 s0, exec_lo, s28
; %bb.77:                               ;   in Loop: Header=BB4_5 Depth=1
	v_min_i32_e32 v5, 15, v11
	s_delay_alu instid0(VALU_DEP_1) | instskip(NEXT) | instid1(VALU_DEP_1)
	v_lshl_or_b32 v2, v5, 3, v2
	v_and_or_b32 v5, v16, 7, v2
                                        ; implicit-def: $vgpr2
; %bb.78:                               ;   in Loop: Header=BB4_5 Depth=1
	s_and_not1_saveexec_b32 s0, s0
; %bb.79:                               ;   in Loop: Header=BB4_5 Depth=1
	v_dual_mov_b32 v6, v3 :: v_dual_mov_b32 v5, v2
; %bb.80:                               ;   in Loop: Header=BB4_5 Depth=1
	s_or_b32 exec_lo, exec_lo, s0
.LBB4_81:                               ;   in Loop: Header=BB4_5 Depth=1
	s_delay_alu instid0(SALU_CYCLE_1)
	s_or_b32 exec_lo, exec_lo, s27
.LBB4_82:                               ;   in Loop: Header=BB4_5 Depth=1
	s_and_not1_saveexec_b32 s0, s26
	s_delay_alu instid0(SALU_CYCLE_1)
	s_or_b32 exec_lo, exec_lo, s0
                                        ; implicit-def: $vgpr6
.LBB4_83:                               ;   in Loop: Header=BB4_5 Depth=1
	s_and_not1_saveexec_b32 s0, s25
; %bb.84:                               ;   in Loop: Header=BB4_5 Depth=1
	v_cmp_eq_u64_e32 vcc_lo, 0, v[11:12]
	v_or_b32_e32 v2, 0x7f, v6
	s_delay_alu instid0(VALU_DEP_1)
	v_cndmask_b32_e32 v5, v2, v5, vcc_lo
; %bb.85:                               ;   in Loop: Header=BB4_5 Depth=1
	s_or_b32 exec_lo, exec_lo, s0
	v_and_b32_e32 v2, 0xffff0000, v7
	v_and_b32_e32 v3, 0xffff0000, v3
	s_delay_alu instid0(VALU_DEP_2) | instskip(SKIP_1) | instid1(VALU_DEP_2)
	v_xor_b32_e32 v6, 0x80000000, v2
	v_cmp_o_f32_e32 vcc_lo, v2, v2
	v_bfe_u32 v7, v6, 16, 1
	s_delay_alu instid0(VALU_DEP_1) | instskip(NEXT) | instid1(VALU_DEP_1)
	v_add3_u32 v6, v6, v7, 0x7fff
	v_and_b32_e32 v6, 0xffff0000, v6
	s_delay_alu instid0(VALU_DEP_1) | instskip(NEXT) | instid1(VALU_DEP_1)
	v_cndmask_b32_e32 v6, 0x7fc00000, v6, vcc_lo
	v_mul_f32_e32 v7, 0x3fb8aa3b, v6
	v_cmp_ngt_f32_e32 vcc_lo, 0xc2ce8ed0, v6
	s_delay_alu instid0(VALU_DEP_2) | instskip(SKIP_1) | instid1(VALU_DEP_2)
	v_fma_f32 v11, 0x3fb8aa3b, v6, -v7
	v_rndne_f32_e32 v16, v7
	v_fmac_f32_e32 v11, 0x32a5705f, v6
	s_delay_alu instid0(VALU_DEP_2) | instskip(NEXT) | instid1(VALU_DEP_1)
	v_sub_f32_e32 v7, v7, v16
	v_add_f32_e32 v7, v7, v11
	v_cvt_i32_f32_e32 v11, v16
	s_delay_alu instid0(VALU_DEP_2) | instskip(SKIP_2) | instid1(VALU_DEP_1)
	v_exp_f32_e32 v7, v7
	s_waitcnt_depctr 0xfff
	v_ldexp_f32 v7, v7, v11
	v_cndmask_b32_e32 v7, 0, v7, vcc_lo
	v_cmp_nlt_f32_e32 vcc_lo, 0x42b17218, v6
	s_delay_alu instid0(VALU_DEP_2) | instskip(NEXT) | instid1(VALU_DEP_1)
	v_cndmask_b32_e32 v6, 0x7f800000, v7, vcc_lo
	v_add_f32_e32 v6, 1.0, v6
	s_delay_alu instid0(VALU_DEP_1) | instskip(SKIP_1) | instid1(VALU_DEP_2)
	v_div_scale_f32 v7, null, v6, v6, v2
	v_div_scale_f32 v17, vcc_lo, v2, v6, v2
	v_rcp_f32_e32 v11, v7
	s_waitcnt_depctr 0xfff
	v_fma_f32 v16, -v7, v11, 1.0
	s_delay_alu instid0(VALU_DEP_1) | instskip(NEXT) | instid1(VALU_DEP_1)
	v_fmac_f32_e32 v11, v16, v11
	v_mul_f32_e32 v16, v17, v11
	s_delay_alu instid0(VALU_DEP_1) | instskip(NEXT) | instid1(VALU_DEP_1)
	v_fma_f32 v18, -v7, v16, v17
	v_fmac_f32_e32 v16, v18, v11
	s_delay_alu instid0(VALU_DEP_1) | instskip(SKIP_1) | instid1(VALU_DEP_2)
	v_fma_f32 v7, -v7, v16, v17
	v_mov_b32_e32 v17, v12
	v_div_fmas_f32 v7, v7, v11, v16
	s_delay_alu instid0(VALU_DEP_1) | instskip(NEXT) | instid1(VALU_DEP_1)
	v_div_fixup_f32 v2, v7, v6, v2
	v_bfe_u32 v6, v2, 16, 1
	v_cmp_o_f32_e32 vcc_lo, v2, v2
	s_delay_alu instid0(VALU_DEP_2) | instskip(NEXT) | instid1(VALU_DEP_1)
	v_add3_u32 v6, v2, v6, 0x7fff
	v_and_b32_e32 v6, 0xffff0000, v6
	s_delay_alu instid0(VALU_DEP_1) | instskip(NEXT) | instid1(VALU_DEP_1)
	v_cndmask_b32_e32 v2, 0x7fc00000, v6, vcc_lo
	v_mul_f32_e32 v2, v2, v3
	s_delay_alu instid0(VALU_DEP_1) | instskip(SKIP_1) | instid1(VALU_DEP_2)
	v_bfe_u32 v3, v2, 16, 1
	v_cmp_o_f32_e32 vcc_lo, v2, v2
	v_add3_u32 v3, v2, v3, 0x7fff
	s_delay_alu instid0(VALU_DEP_1) | instskip(NEXT) | instid1(VALU_DEP_1)
	v_and_b32_e32 v3, 0xffff0000, v3
	v_cndmask_b32_e32 v2, 0x7fc00000, v3, vcc_lo
	s_delay_alu instid0(VALU_DEP_1) | instskip(NEXT) | instid1(VALU_DEP_1)
	v_mul_f32_e32 v2, v19, v2
	v_minmax_f32 v7, v2, s24, 0xc3e00000
	s_delay_alu instid0(VALU_DEP_1) | instskip(SKIP_2) | instid1(VALU_DEP_3)
	v_lshrrev_b32_e32 v3, 24, v7
	v_and_b32_e32 v16, 0x7f800000, v7
	v_and_b32_e32 v11, 0x7fffff, v7
	;; [unrolled: 1-line block ×3, first 2 shown]
	s_delay_alu instid0(VALU_DEP_3) | instskip(NEXT) | instid1(VALU_DEP_2)
	v_cmp_ne_u64_e32 vcc_lo, 0x7f800000, v[16:17]
                                        ; kill: def $vgpr16_vgpr17 killed $sgpr0_sgpr1 killed $exec
	v_or_b32_e32 v2, 0x7e, v6
	s_and_saveexec_b32 s0, vcc_lo
	s_delay_alu instid0(SALU_CYCLE_1)
	s_xor_b32 s25, exec_lo, s0
	s_cbranch_execz .LBB4_99
; %bb.86:                               ;   in Loop: Header=BB4_5 Depth=1
	v_dual_mov_b32 v17, v12 :: v_dual_and_b32 v16, 0x7fffffff, v7
	s_delay_alu instid0(VALU_DEP_1) | instskip(SKIP_1) | instid1(SALU_CYCLE_1)
	v_cmp_gt_u64_e32 vcc_lo, 0x43e00001, v[16:17]
                                        ; kill: def $vgpr16_vgpr17 killed $sgpr0_sgpr1 killed $exec
	s_and_saveexec_b32 s0, vcc_lo
	s_xor_b32 s26, exec_lo, s0
	s_cbranch_execz .LBB4_98
; %bb.87:                               ;   in Loop: Header=BB4_5 Depth=1
	s_mov_b32 s27, exec_lo
	v_mov_b32_e32 v2, 0
	v_mov_b32_e32 v3, 0
	v_cmpx_ne_u32_e32 0, v7
	s_cbranch_execz .LBB4_97
; %bb.88:                               ;   in Loop: Header=BB4_5 Depth=1
	v_bfe_u32 v7, v7, 23, 8
	s_delay_alu instid0(VALU_DEP_1) | instskip(SKIP_2) | instid1(VALU_DEP_3)
	v_sub_nc_u32_e64 v2, 0x79, v7 clamp
	v_cmp_eq_u32_e32 vcc_lo, 0, v7
	v_add_nc_u32_e32 v7, 0xffffff88, v7
	v_cndmask_b32_e64 v18, v2, 0x78, vcc_lo
	v_or_b32_e32 v2, 0x800000, v11
	s_delay_alu instid0(VALU_DEP_3) | instskip(NEXT) | instid1(VALU_DEP_3)
	v_cndmask_b32_e64 v7, v7, 0xffffff89, vcc_lo
	v_add_nc_u32_e32 v3, 20, v18
	s_delay_alu instid0(VALU_DEP_3) | instskip(NEXT) | instid1(VALU_DEP_2)
	v_dual_cndmask_b32 v11, v2, v11 :: v_dual_add_nc_u32 v16, 19, v18
	v_lshlrev_b64 v[2:3], v3, -1
	s_delay_alu instid0(VALU_DEP_2) | instskip(NEXT) | instid1(VALU_DEP_2)
	v_lshrrev_b64 v[24:25], v18, v[11:12]
	v_not_b32_e32 v17, v3
	s_delay_alu instid0(VALU_DEP_3) | instskip(SKIP_1) | instid1(VALU_DEP_3)
	v_not_b32_e32 v26, v2
	v_lshlrev_b64 v[2:3], v16, 1
	v_and_b32_e32 v17, 0, v17
	s_delay_alu instid0(VALU_DEP_3) | instskip(SKIP_2) | instid1(VALU_DEP_3)
	v_and_b32_e32 v16, v11, v26
	v_and_b32_e32 v11, 0x100000, v24
	v_lshrrev_b32_e32 v26, 23, v24
	v_cmp_eq_u64_e32 vcc_lo, v[16:17], v[2:3]
	s_delay_alu instid0(VALU_DEP_3) | instskip(NEXT) | instid1(VALU_DEP_3)
	v_cmp_eq_u64_e64 s0, 0, v[11:12]
	v_add3_u32 v16, v7, v18, v26
	s_delay_alu instid0(VALU_DEP_1) | instskip(NEXT) | instid1(VALU_DEP_3)
	v_add_nc_u32_e32 v17, -1, v16
	s_and_b32 vcc_lo, s0, vcc_lo
	v_subrev_co_ci_u32_e32 v2, vcc_lo, 0, v24, vcc_lo
	s_delay_alu instid0(VALU_DEP_1) | instskip(NEXT) | instid1(VALU_DEP_1)
	v_and_b32_e32 v7, 0xfffff, v2
	v_add_co_u32 v2, s0, v7, v24
	s_delay_alu instid0(VALU_DEP_1)
	v_add_co_ci_u32_e64 v3, s0, 0, v25, s0
	s_mov_b32 s0, exec_lo
                                        ; implicit-def: $vgpr7
	v_cmpx_ne_u32_e32 0, v17
	s_xor_b32 s0, exec_lo, s0
; %bb.89:                               ;   in Loop: Header=BB4_5 Depth=1
	v_and_b32_e32 v11, 0x1000000, v2
	v_bfe_u32 v7, v2, 24, 1
	s_delay_alu instid0(VALU_DEP_2) | instskip(NEXT) | instid1(VALU_DEP_2)
	v_cmp_eq_u64_e32 vcc_lo, 0, v[11:12]
	v_lshrrev_b64 v[2:3], v7, v[2:3]
	v_cndmask_b32_e32 v7, v16, v17, vcc_lo
; %bb.90:                               ;   in Loop: Header=BB4_5 Depth=1
	s_and_not1_saveexec_b32 s0, s0
; %bb.91:                               ;   in Loop: Header=BB4_5 Depth=1
	s_delay_alu instid0(VALU_DEP_2)
	v_bfe_u32 v7, v2, 23, 1
; %bb.92:                               ;   in Loop: Header=BB4_5 Depth=1
	s_or_b32 exec_lo, exec_lo, s0
	s_delay_alu instid0(VALU_DEP_3) | instskip(NEXT) | instid1(VALU_DEP_2)
	v_lshrrev_b64 v[2:3], 20, v[2:3]
	v_cmp_gt_i32_e32 vcc_lo, 16, v7
	v_cmp_ne_u32_e64 s0, 0, v7
	s_delay_alu instid0(VALU_DEP_3) | instskip(NEXT) | instid1(VALU_DEP_1)
	v_dual_cndmask_b32 v17, 0, v3 :: v_dual_cndmask_b32 v16, 7, v2
                                        ; implicit-def: $vgpr2_vgpr3
	v_cmp_ne_u64_e32 vcc_lo, 0, v[16:17]
	s_delay_alu instid0(VALU_DEP_3) | instskip(NEXT) | instid1(SALU_CYCLE_1)
	s_or_b32 s0, s0, vcc_lo
	s_and_saveexec_b32 s28, s0
	s_delay_alu instid0(SALU_CYCLE_1)
	s_xor_b32 s0, exec_lo, s28
; %bb.93:                               ;   in Loop: Header=BB4_5 Depth=1
	v_min_i32_e32 v2, 15, v7
	s_delay_alu instid0(VALU_DEP_1) | instskip(NEXT) | instid1(VALU_DEP_1)
	v_lshl_or_b32 v2, v2, 3, v6
                                        ; implicit-def: $vgpr6
	v_and_or_b32 v2, v16, 7, v2
; %bb.94:                               ;   in Loop: Header=BB4_5 Depth=1
	s_and_not1_saveexec_b32 s0, s0
; %bb.95:                               ;   in Loop: Header=BB4_5 Depth=1
	v_dual_mov_b32 v2, v6 :: v_dual_mov_b32 v3, v7
; %bb.96:                               ;   in Loop: Header=BB4_5 Depth=1
	s_or_b32 exec_lo, exec_lo, s0
.LBB4_97:                               ;   in Loop: Header=BB4_5 Depth=1
	s_delay_alu instid0(SALU_CYCLE_1)
	s_or_b32 exec_lo, exec_lo, s27
.LBB4_98:                               ;   in Loop: Header=BB4_5 Depth=1
	s_and_not1_saveexec_b32 s0, s26
	s_delay_alu instid0(SALU_CYCLE_1)
	s_or_b32 exec_lo, exec_lo, s0
                                        ; implicit-def: $vgpr3
.LBB4_99:                               ;   in Loop: Header=BB4_5 Depth=1
	s_and_not1_saveexec_b32 s0, s25
; %bb.100:                              ;   in Loop: Header=BB4_5 Depth=1
	v_cmp_eq_u64_e32 vcc_lo, 0, v[11:12]
	v_or_b32_e32 v3, 0x7f, v3
	s_delay_alu instid0(VALU_DEP_1)
	v_cndmask_b32_e32 v2, v3, v2, vcc_lo
; %bb.101:                              ;   in Loop: Header=BB4_5 Depth=1
	s_or_b32 exec_lo, exec_lo, s0
	v_lshlrev_b32_e32 v3, 16, v8
	s_mov_b32 s0, exec_lo
	s_delay_alu instid0(VALU_DEP_1) | instskip(SKIP_1) | instid1(VALU_DEP_2)
	v_xor_b32_e32 v6, 0x80000000, v3
	v_cmp_o_f32_e32 vcc_lo, v3, v3
	v_bfe_u32 v7, v6, 16, 1
	s_delay_alu instid0(VALU_DEP_1) | instskip(NEXT) | instid1(VALU_DEP_1)
	v_add3_u32 v6, v6, v7, 0x7fff
	v_and_b32_e32 v6, 0xffff0000, v6
	s_delay_alu instid0(VALU_DEP_1) | instskip(NEXT) | instid1(VALU_DEP_1)
	v_cndmask_b32_e32 v6, 0x7fc00000, v6, vcc_lo
	v_mul_f32_e32 v7, 0x3fb8aa3b, v6
	v_cmp_ngt_f32_e32 vcc_lo, 0xc2ce8ed0, v6
	s_delay_alu instid0(VALU_DEP_2) | instskip(SKIP_1) | instid1(VALU_DEP_2)
	v_fma_f32 v11, 0x3fb8aa3b, v6, -v7
	v_rndne_f32_e32 v16, v7
	v_fmac_f32_e32 v11, 0x32a5705f, v6
	s_delay_alu instid0(VALU_DEP_2) | instskip(NEXT) | instid1(VALU_DEP_1)
	v_sub_f32_e32 v7, v7, v16
	v_add_f32_e32 v7, v7, v11
	v_cvt_i32_f32_e32 v11, v16
	s_delay_alu instid0(VALU_DEP_2) | instskip(SKIP_2) | instid1(VALU_DEP_1)
	v_exp_f32_e32 v7, v7
	s_waitcnt_depctr 0xfff
	v_ldexp_f32 v7, v7, v11
	v_cndmask_b32_e32 v7, 0, v7, vcc_lo
	v_cmp_nlt_f32_e32 vcc_lo, 0x42b17218, v6
	s_delay_alu instid0(VALU_DEP_2) | instskip(NEXT) | instid1(VALU_DEP_1)
	v_cndmask_b32_e32 v6, 0x7f800000, v7, vcc_lo
	v_add_f32_e32 v6, 1.0, v6
	s_delay_alu instid0(VALU_DEP_1) | instskip(SKIP_1) | instid1(VALU_DEP_2)
	v_div_scale_f32 v7, null, v6, v6, v3
	v_div_scale_f32 v17, vcc_lo, v3, v6, v3
	v_rcp_f32_e32 v11, v7
	s_waitcnt_depctr 0xfff
	v_fma_f32 v16, -v7, v11, 1.0
	s_delay_alu instid0(VALU_DEP_1) | instskip(NEXT) | instid1(VALU_DEP_1)
	v_fmac_f32_e32 v11, v16, v11
	v_mul_f32_e32 v16, v17, v11
	s_delay_alu instid0(VALU_DEP_1) | instskip(NEXT) | instid1(VALU_DEP_1)
	v_fma_f32 v18, -v7, v16, v17
	v_fmac_f32_e32 v16, v18, v11
	v_mov_b32_e32 v18, v12
	s_delay_alu instid0(VALU_DEP_2) | instskip(NEXT) | instid1(VALU_DEP_1)
	v_fma_f32 v7, -v7, v16, v17
	v_div_fmas_f32 v7, v7, v11, v16
	s_delay_alu instid0(VALU_DEP_1) | instskip(SKIP_1) | instid1(VALU_DEP_2)
	v_div_fixup_f32 v3, v7, v6, v3
	v_lshlrev_b32_e32 v7, 16, v4
	v_bfe_u32 v6, v3, 16, 1
	v_cmp_o_f32_e32 vcc_lo, v3, v3
	s_delay_alu instid0(VALU_DEP_2) | instskip(NEXT) | instid1(VALU_DEP_1)
	v_add3_u32 v6, v3, v6, 0x7fff
	v_and_b32_e32 v6, 0xffff0000, v6
	s_delay_alu instid0(VALU_DEP_1) | instskip(NEXT) | instid1(VALU_DEP_1)
	v_cndmask_b32_e32 v3, 0x7fc00000, v6, vcc_lo
	v_mul_f32_e32 v3, v3, v7
	s_delay_alu instid0(VALU_DEP_1) | instskip(SKIP_1) | instid1(VALU_DEP_2)
	v_bfe_u32 v6, v3, 16, 1
	v_cmp_o_f32_e32 vcc_lo, v3, v3
	v_add3_u32 v6, v3, v6, 0x7fff
	s_delay_alu instid0(VALU_DEP_1) | instskip(NEXT) | instid1(VALU_DEP_1)
	v_and_b32_e32 v6, 0xffff0000, v6
	v_cndmask_b32_e32 v3, 0x7fc00000, v6, vcc_lo
	s_delay_alu instid0(VALU_DEP_1) | instskip(NEXT) | instid1(VALU_DEP_1)
	v_mul_f32_e32 v3, v19, v3
	v_minmax_f32 v16, v3, s24, 0xc3e00000
	s_delay_alu instid0(VALU_DEP_1) | instskip(SKIP_2) | instid1(VALU_DEP_3)
	v_lshrrev_b32_e32 v7, 24, v16
	v_and_b32_e32 v17, 0x7f800000, v16
	v_and_b32_e32 v11, 0x7fffff, v16
	;; [unrolled: 1-line block ×3, first 2 shown]
	s_delay_alu instid0(VALU_DEP_1) | instskip(NEXT) | instid1(VALU_DEP_4)
	v_or_b32_e32 v6, 0x7e, v3
	v_cmpx_ne_u64_e32 0x7f800000, v[17:18]
	s_xor_b32 s25, exec_lo, s0
	s_cbranch_execz .LBB4_115
; %bb.102:                              ;   in Loop: Header=BB4_5 Depth=1
	v_dual_mov_b32 v18, v12 :: v_dual_and_b32 v17, 0x7fffffff, v16
	s_mov_b32 s0, exec_lo
	s_delay_alu instid0(VALU_DEP_1)
	v_cmpx_gt_u64_e32 0x43e00001, v[17:18]
	s_xor_b32 s26, exec_lo, s0
	s_cbranch_execz .LBB4_114
; %bb.103:                              ;   in Loop: Header=BB4_5 Depth=1
	s_mov_b32 s27, exec_lo
	v_mov_b32_e32 v6, 0
	v_mov_b32_e32 v7, 0
	v_cmpx_ne_u32_e32 0, v16
	s_cbranch_execz .LBB4_113
; %bb.104:                              ;   in Loop: Header=BB4_5 Depth=1
	v_bfe_u32 v16, v16, 23, 8
	s_delay_alu instid0(VALU_DEP_1) | instskip(SKIP_2) | instid1(VALU_DEP_3)
	v_sub_nc_u32_e64 v6, 0x79, v16 clamp
	v_cmp_eq_u32_e32 vcc_lo, 0, v16
	v_add_nc_u32_e32 v28, 0xffffff88, v16
	v_cndmask_b32_e64 v18, v6, 0x78, vcc_lo
	v_or_b32_e32 v6, 0x800000, v11
	s_delay_alu instid0(VALU_DEP_2) | instskip(NEXT) | instid1(VALU_DEP_2)
	v_add_nc_u32_e32 v7, 20, v18
	v_cndmask_b32_e32 v11, v6, v11, vcc_lo
	v_add_nc_u32_e32 v17, 19, v18
	s_delay_alu instid0(VALU_DEP_3) | instskip(NEXT) | instid1(VALU_DEP_3)
	v_lshlrev_b64 v[6:7], v7, -1
	v_lshrrev_b64 v[24:25], v18, v[11:12]
	s_delay_alu instid0(VALU_DEP_2) | instskip(NEXT) | instid1(VALU_DEP_3)
	v_not_b32_e32 v26, v7
	v_not_b32_e32 v27, v6
	v_lshlrev_b64 v[6:7], v17, 1
	s_delay_alu instid0(VALU_DEP_3) | instskip(NEXT) | instid1(VALU_DEP_3)
	v_and_b32_e32 v17, 0, v26
	v_and_b32_e32 v16, v11, v27
	;; [unrolled: 1-line block ×3, first 2 shown]
	v_cndmask_b32_e64 v26, v28, 0xffffff89, vcc_lo
	v_lshrrev_b32_e32 v27, 23, v24
	s_delay_alu instid0(VALU_DEP_4) | instskip(NEXT) | instid1(VALU_DEP_4)
	v_cmp_eq_u64_e32 vcc_lo, v[16:17], v[6:7]
	v_cmp_eq_u64_e64 s0, 0, v[11:12]
	s_delay_alu instid0(VALU_DEP_3) | instskip(NEXT) | instid1(VALU_DEP_2)
	v_add3_u32 v16, v26, v18, v27
	s_and_b32 vcc_lo, s0, vcc_lo
	s_delay_alu instid0(VALU_DEP_1) | instskip(SKIP_1) | instid1(VALU_DEP_1)
	v_add_nc_u32_e32 v17, -1, v16
	v_subrev_co_ci_u32_e32 v6, vcc_lo, 0, v24, vcc_lo
	v_and_b32_e32 v11, 0xfffff, v6
	s_delay_alu instid0(VALU_DEP_1) | instskip(NEXT) | instid1(VALU_DEP_1)
	v_add_co_u32 v6, s0, v11, v24
	v_add_co_ci_u32_e64 v7, s0, 0, v25, s0
	s_mov_b32 s0, exec_lo
                                        ; implicit-def: $vgpr11
	v_cmpx_ne_u32_e32 0, v17
	s_xor_b32 s0, exec_lo, s0
; %bb.105:                              ;   in Loop: Header=BB4_5 Depth=1
	v_and_b32_e32 v11, 0x1000000, v6
	v_bfe_u32 v18, v6, 24, 1
	s_delay_alu instid0(VALU_DEP_2) | instskip(NEXT) | instid1(VALU_DEP_2)
	v_cmp_eq_u64_e32 vcc_lo, 0, v[11:12]
	v_lshrrev_b64 v[6:7], v18, v[6:7]
	v_cndmask_b32_e32 v11, v16, v17, vcc_lo
; %bb.106:                              ;   in Loop: Header=BB4_5 Depth=1
	s_and_not1_saveexec_b32 s0, s0
; %bb.107:                              ;   in Loop: Header=BB4_5 Depth=1
	s_delay_alu instid0(VALU_DEP_2)
	v_bfe_u32 v11, v6, 23, 1
; %bb.108:                              ;   in Loop: Header=BB4_5 Depth=1
	s_or_b32 exec_lo, exec_lo, s0
	s_delay_alu instid0(VALU_DEP_3) | instskip(NEXT) | instid1(VALU_DEP_2)
	v_lshrrev_b64 v[6:7], 20, v[6:7]
	v_cmp_gt_i32_e32 vcc_lo, 16, v11
	v_cmp_ne_u32_e64 s0, 0, v11
	s_delay_alu instid0(VALU_DEP_3) | instskip(NEXT) | instid1(VALU_DEP_1)
	v_dual_cndmask_b32 v17, 0, v7 :: v_dual_cndmask_b32 v16, 7, v6
                                        ; implicit-def: $vgpr6_vgpr7
	v_cmp_ne_u64_e32 vcc_lo, 0, v[16:17]
	s_delay_alu instid0(VALU_DEP_3) | instskip(NEXT) | instid1(SALU_CYCLE_1)
	s_or_b32 s0, s0, vcc_lo
	s_and_saveexec_b32 s28, s0
	s_delay_alu instid0(SALU_CYCLE_1)
	s_xor_b32 s0, exec_lo, s28
; %bb.109:                              ;   in Loop: Header=BB4_5 Depth=1
	v_min_i32_e32 v6, 15, v11
	s_delay_alu instid0(VALU_DEP_1) | instskip(NEXT) | instid1(VALU_DEP_1)
	v_lshl_or_b32 v3, v6, 3, v3
	v_and_or_b32 v6, v16, 7, v3
                                        ; implicit-def: $vgpr3
; %bb.110:                              ;   in Loop: Header=BB4_5 Depth=1
	s_and_not1_saveexec_b32 s0, s0
; %bb.111:                              ;   in Loop: Header=BB4_5 Depth=1
	v_dual_mov_b32 v7, v4 :: v_dual_mov_b32 v6, v3
; %bb.112:                              ;   in Loop: Header=BB4_5 Depth=1
	s_or_b32 exec_lo, exec_lo, s0
.LBB4_113:                              ;   in Loop: Header=BB4_5 Depth=1
	s_delay_alu instid0(SALU_CYCLE_1)
	s_or_b32 exec_lo, exec_lo, s27
.LBB4_114:                              ;   in Loop: Header=BB4_5 Depth=1
	s_and_not1_saveexec_b32 s0, s26
	s_delay_alu instid0(SALU_CYCLE_1)
	s_or_b32 exec_lo, exec_lo, s0
                                        ; implicit-def: $vgpr7
.LBB4_115:                              ;   in Loop: Header=BB4_5 Depth=1
	s_and_not1_saveexec_b32 s0, s25
; %bb.116:                              ;   in Loop: Header=BB4_5 Depth=1
	v_cmp_eq_u64_e32 vcc_lo, 0, v[11:12]
	v_or_b32_e32 v3, 0x7f, v7
	s_delay_alu instid0(VALU_DEP_1)
	v_cndmask_b32_e32 v6, v3, v6, vcc_lo
; %bb.117:                              ;   in Loop: Header=BB4_5 Depth=1
	s_or_b32 exec_lo, exec_lo, s0
	v_and_b32_e32 v3, 0xffff0000, v8
	v_and_b32_e32 v4, 0xffff0000, v4
	s_delay_alu instid0(VALU_DEP_2) | instskip(SKIP_1) | instid1(VALU_DEP_2)
	v_xor_b32_e32 v7, 0x80000000, v3
	v_cmp_o_f32_e32 vcc_lo, v3, v3
	v_bfe_u32 v8, v7, 16, 1
	s_delay_alu instid0(VALU_DEP_1) | instskip(NEXT) | instid1(VALU_DEP_1)
	v_add3_u32 v7, v7, v8, 0x7fff
	v_and_b32_e32 v7, 0xffff0000, v7
	s_delay_alu instid0(VALU_DEP_1) | instskip(NEXT) | instid1(VALU_DEP_1)
	v_cndmask_b32_e32 v7, 0x7fc00000, v7, vcc_lo
	v_mul_f32_e32 v8, 0x3fb8aa3b, v7
	v_cmp_ngt_f32_e32 vcc_lo, 0xc2ce8ed0, v7
	s_delay_alu instid0(VALU_DEP_2) | instskip(SKIP_1) | instid1(VALU_DEP_1)
	v_fma_f32 v11, 0x3fb8aa3b, v7, -v8
	v_rndne_f32_e32 v16, v8
	v_dual_fmac_f32 v11, 0x32a5705f, v7 :: v_dual_sub_f32 v8, v8, v16
	s_delay_alu instid0(VALU_DEP_1) | instskip(SKIP_1) | instid1(VALU_DEP_2)
	v_add_f32_e32 v8, v8, v11
	v_cvt_i32_f32_e32 v11, v16
	v_exp_f32_e32 v8, v8
	s_waitcnt_depctr 0xfff
	v_ldexp_f32 v8, v8, v11
	s_delay_alu instid0(VALU_DEP_1) | instskip(SKIP_1) | instid1(VALU_DEP_2)
	v_cndmask_b32_e32 v8, 0, v8, vcc_lo
	v_cmp_nlt_f32_e32 vcc_lo, 0x42b17218, v7
	v_cndmask_b32_e32 v7, 0x7f800000, v8, vcc_lo
	s_delay_alu instid0(VALU_DEP_1) | instskip(NEXT) | instid1(VALU_DEP_1)
	v_add_f32_e32 v7, 1.0, v7
	v_div_scale_f32 v8, null, v7, v7, v3
	v_div_scale_f32 v17, vcc_lo, v3, v7, v3
	s_delay_alu instid0(VALU_DEP_2) | instskip(SKIP_2) | instid1(VALU_DEP_1)
	v_rcp_f32_e32 v11, v8
	s_waitcnt_depctr 0xfff
	v_fma_f32 v16, -v8, v11, 1.0
	v_fmac_f32_e32 v11, v16, v11
	s_delay_alu instid0(VALU_DEP_1) | instskip(NEXT) | instid1(VALU_DEP_1)
	v_mul_f32_e32 v16, v17, v11
	v_fma_f32 v18, -v8, v16, v17
	s_delay_alu instid0(VALU_DEP_1) | instskip(NEXT) | instid1(VALU_DEP_1)
	v_fmac_f32_e32 v16, v18, v11
	v_fma_f32 v8, -v8, v16, v17
	v_mov_b32_e32 v17, v12
	s_delay_alu instid0(VALU_DEP_2) | instskip(NEXT) | instid1(VALU_DEP_1)
	v_div_fmas_f32 v8, v8, v11, v16
	v_div_fixup_f32 v3, v8, v7, v3
	s_delay_alu instid0(VALU_DEP_1) | instskip(SKIP_1) | instid1(VALU_DEP_2)
	v_bfe_u32 v7, v3, 16, 1
	v_cmp_o_f32_e32 vcc_lo, v3, v3
	v_add3_u32 v7, v3, v7, 0x7fff
	s_delay_alu instid0(VALU_DEP_1) | instskip(NEXT) | instid1(VALU_DEP_1)
	v_and_b32_e32 v7, 0xffff0000, v7
	v_cndmask_b32_e32 v3, 0x7fc00000, v7, vcc_lo
	s_delay_alu instid0(VALU_DEP_1) | instskip(NEXT) | instid1(VALU_DEP_1)
	v_mul_f32_e32 v3, v3, v4
	v_bfe_u32 v4, v3, 16, 1
	v_cmp_o_f32_e32 vcc_lo, v3, v3
	s_delay_alu instid0(VALU_DEP_2) | instskip(NEXT) | instid1(VALU_DEP_1)
	v_add3_u32 v4, v3, v4, 0x7fff
	v_and_b32_e32 v4, 0xffff0000, v4
	s_delay_alu instid0(VALU_DEP_1) | instskip(NEXT) | instid1(VALU_DEP_1)
	v_cndmask_b32_e32 v3, 0x7fc00000, v4, vcc_lo
	v_mul_f32_e32 v3, v19, v3
	s_delay_alu instid0(VALU_DEP_1) | instskip(NEXT) | instid1(VALU_DEP_1)
	v_minmax_f32 v4, v3, s24, 0xc3e00000
	v_lshrrev_b32_e32 v8, 24, v4
	v_and_b32_e32 v16, 0x7f800000, v4
	v_and_b32_e32 v11, 0x7fffff, v4
	s_delay_alu instid0(VALU_DEP_3) | instskip(NEXT) | instid1(VALU_DEP_3)
	v_and_b32_e32 v3, 0x80, v8
	v_cmp_ne_u64_e32 vcc_lo, 0x7f800000, v[16:17]
                                        ; kill: def $vgpr16_vgpr17 killed $sgpr0_sgpr1 killed $exec
	s_delay_alu instid0(VALU_DEP_2) | instskip(SKIP_1) | instid1(SALU_CYCLE_1)
	v_or_b32_e32 v7, 0x7e, v3
	s_and_saveexec_b32 s0, vcc_lo
	s_xor_b32 s25, exec_lo, s0
	s_cbranch_execz .LBB4_131
; %bb.118:                              ;   in Loop: Header=BB4_5 Depth=1
	v_dual_mov_b32 v17, v12 :: v_dual_and_b32 v16, 0x7fffffff, v4
	s_delay_alu instid0(VALU_DEP_1) | instskip(SKIP_1) | instid1(SALU_CYCLE_1)
	v_cmp_gt_u64_e32 vcc_lo, 0x43e00001, v[16:17]
                                        ; kill: def $vgpr16_vgpr17 killed $sgpr0_sgpr1 killed $exec
	s_and_saveexec_b32 s0, vcc_lo
	s_xor_b32 s26, exec_lo, s0
	s_cbranch_execz .LBB4_130
; %bb.119:                              ;   in Loop: Header=BB4_5 Depth=1
	s_mov_b32 s27, exec_lo
	v_mov_b32_e32 v7, 0
	v_mov_b32_e32 v8, 0
	v_cmpx_ne_u32_e32 0, v4
	s_cbranch_execz .LBB4_129
; %bb.120:                              ;   in Loop: Header=BB4_5 Depth=1
	v_bfe_u32 v4, v4, 23, 8
	s_delay_alu instid0(VALU_DEP_1) | instskip(SKIP_2) | instid1(VALU_DEP_3)
	v_sub_nc_u32_e64 v7, 0x79, v4 clamp
	v_cmp_eq_u32_e32 vcc_lo, 0, v4
	v_add_nc_u32_e32 v4, 0xffffff88, v4
	v_cndmask_b32_e64 v18, v7, 0x78, vcc_lo
	v_or_b32_e32 v7, 0x800000, v11
	s_delay_alu instid0(VALU_DEP_3) | instskip(NEXT) | instid1(VALU_DEP_2)
	v_cndmask_b32_e64 v4, v4, 0xffffff89, vcc_lo
	v_dual_cndmask_b32 v11, v7, v11 :: v_dual_add_nc_u32 v8, 20, v18
	v_add_nc_u32_e32 v16, 19, v18
	s_delay_alu instid0(VALU_DEP_2) | instskip(NEXT) | instid1(VALU_DEP_3)
	v_lshlrev_b64 v[7:8], v8, -1
	v_lshrrev_b64 v[24:25], v18, v[11:12]
	s_delay_alu instid0(VALU_DEP_2) | instskip(NEXT) | instid1(VALU_DEP_3)
	v_not_b32_e32 v17, v8
	v_not_b32_e32 v26, v7
	v_lshlrev_b64 v[7:8], v16, 1
	s_delay_alu instid0(VALU_DEP_3) | instskip(NEXT) | instid1(VALU_DEP_3)
	v_and_b32_e32 v17, 0, v17
	v_and_b32_e32 v16, v11, v26
	;; [unrolled: 1-line block ×3, first 2 shown]
	v_lshrrev_b32_e32 v26, 23, v24
	s_delay_alu instid0(VALU_DEP_3) | instskip(NEXT) | instid1(VALU_DEP_3)
	v_cmp_eq_u64_e32 vcc_lo, v[16:17], v[7:8]
	v_cmp_eq_u64_e64 s0, 0, v[11:12]
	s_delay_alu instid0(VALU_DEP_3) | instskip(NEXT) | instid1(VALU_DEP_1)
	v_add3_u32 v16, v4, v18, v26
	v_add_nc_u32_e32 v17, -1, v16
	s_delay_alu instid0(VALU_DEP_3) | instskip(SKIP_1) | instid1(VALU_DEP_1)
	s_and_b32 vcc_lo, s0, vcc_lo
	v_subrev_co_ci_u32_e32 v4, vcc_lo, 0, v24, vcc_lo
	v_and_b32_e32 v4, 0xfffff, v4
	s_delay_alu instid0(VALU_DEP_1) | instskip(NEXT) | instid1(VALU_DEP_1)
	v_add_co_u32 v7, s0, v4, v24
	v_add_co_ci_u32_e64 v8, s0, 0, v25, s0
	s_mov_b32 s0, exec_lo
                                        ; implicit-def: $vgpr4
	v_cmpx_ne_u32_e32 0, v17
	s_xor_b32 s0, exec_lo, s0
; %bb.121:                              ;   in Loop: Header=BB4_5 Depth=1
	v_and_b32_e32 v11, 0x1000000, v7
	v_bfe_u32 v4, v7, 24, 1
	s_delay_alu instid0(VALU_DEP_2) | instskip(NEXT) | instid1(VALU_DEP_2)
	v_cmp_eq_u64_e32 vcc_lo, 0, v[11:12]
	v_lshrrev_b64 v[7:8], v4, v[7:8]
	v_cndmask_b32_e32 v4, v16, v17, vcc_lo
; %bb.122:                              ;   in Loop: Header=BB4_5 Depth=1
	s_and_not1_saveexec_b32 s0, s0
; %bb.123:                              ;   in Loop: Header=BB4_5 Depth=1
	s_delay_alu instid0(VALU_DEP_2)
	v_bfe_u32 v4, v7, 23, 1
; %bb.124:                              ;   in Loop: Header=BB4_5 Depth=1
	s_or_b32 exec_lo, exec_lo, s0
	s_delay_alu instid0(VALU_DEP_3) | instskip(NEXT) | instid1(VALU_DEP_2)
	v_lshrrev_b64 v[7:8], 20, v[7:8]
	v_cmp_gt_i32_e32 vcc_lo, 16, v4
	v_cmp_ne_u32_e64 s0, 0, v4
	s_delay_alu instid0(VALU_DEP_3) | instskip(NEXT) | instid1(VALU_DEP_1)
	v_dual_cndmask_b32 v17, 0, v8 :: v_dual_cndmask_b32 v16, 7, v7
                                        ; implicit-def: $vgpr7_vgpr8
	v_cmp_ne_u64_e32 vcc_lo, 0, v[16:17]
	s_delay_alu instid0(VALU_DEP_3) | instskip(NEXT) | instid1(SALU_CYCLE_1)
	s_or_b32 s0, s0, vcc_lo
	s_and_saveexec_b32 s28, s0
	s_delay_alu instid0(SALU_CYCLE_1)
	s_xor_b32 s0, exec_lo, s28
; %bb.125:                              ;   in Loop: Header=BB4_5 Depth=1
	v_min_i32_e32 v4, 15, v4
	s_delay_alu instid0(VALU_DEP_1) | instskip(NEXT) | instid1(VALU_DEP_1)
	v_lshl_or_b32 v3, v4, 3, v3
	v_and_or_b32 v7, v16, 7, v3
                                        ; implicit-def: $vgpr3
; %bb.126:                              ;   in Loop: Header=BB4_5 Depth=1
	s_and_not1_saveexec_b32 s0, s0
; %bb.127:                              ;   in Loop: Header=BB4_5 Depth=1
	v_dual_mov_b32 v8, v4 :: v_dual_mov_b32 v7, v3
; %bb.128:                              ;   in Loop: Header=BB4_5 Depth=1
	s_or_b32 exec_lo, exec_lo, s0
.LBB4_129:                              ;   in Loop: Header=BB4_5 Depth=1
	s_delay_alu instid0(SALU_CYCLE_1)
	s_or_b32 exec_lo, exec_lo, s27
.LBB4_130:                              ;   in Loop: Header=BB4_5 Depth=1
	s_and_not1_saveexec_b32 s0, s26
	s_delay_alu instid0(SALU_CYCLE_1)
	s_or_b32 exec_lo, exec_lo, s0
                                        ; implicit-def: $vgpr8
.LBB4_131:                              ;   in Loop: Header=BB4_5 Depth=1
	s_and_not1_saveexec_b32 s0, s25
	s_cbranch_execz .LBB4_4
; %bb.132:                              ;   in Loop: Header=BB4_5 Depth=1
	v_cmp_eq_u64_e32 vcc_lo, 0, v[11:12]
	v_or_b32_e32 v3, 0x7f, v8
	s_delay_alu instid0(VALU_DEP_1)
	v_cndmask_b32_e32 v7, v3, v7, vcc_lo
	s_branch .LBB4_4
.LBB4_133:
	s_or_b32 exec_lo, exec_lo, s8
	s_sub_i32 s0, 8, s1
	s_delay_alu instid0(SALU_CYCLE_1)
	s_cmp_gt_i32 s20, s0
	s_cbranch_scc0 .LBB4_164
; %bb.134:
	v_add_nc_u32_e32 v0, s0, v0
	s_mov_b32 s0, exec_lo
	s_delay_alu instid0(VALU_DEP_1)
	v_cmpx_gt_i32_e64 s20, v0
	s_cbranch_execz .LBB4_164
; %bb.135:
	s_load_b32 s0, s[4:5], 0xc
	s_ashr_i32 s21, s20, 31
	s_mov_b32 s2, exec_lo
	s_waitcnt lgkmcnt(0)
	s_and_b32 s28, s0, 0xffff
	v_cmp_gt_u16_e64 s0, s0, 1
	v_add_co_u32 v1, s1, s28, v0
	s_delay_alu instid0(VALU_DEP_1) | instskip(NEXT) | instid1(VALU_DEP_3)
	v_add_co_ci_u32_e64 v2, null, 0, 0, s1
	s_and_b32 s0, s0, exec_lo
	s_cselect_b32 s0, 0, 0
	s_cselect_b32 s1, s28, 1
	s_delay_alu instid0(VALU_DEP_1) | instskip(SKIP_3) | instid1(VALU_DEP_3)
	v_cmp_gt_i64_e32 vcc_lo, s[20:21], v[1:2]
	v_cndmask_b32_e64 v6, 0, 1, vcc_lo
	v_cndmask_b32_e64 v3, v2, s21, vcc_lo
	;; [unrolled: 1-line block ×3, first 2 shown]
	v_add_co_u32 v5, vcc_lo, v1, v6
	v_add_co_ci_u32_e32 v2, vcc_lo, 0, v2, vcc_lo
	v_mov_b32_e32 v1, 0
	s_delay_alu instid0(VALU_DEP_3) | instskip(NEXT) | instid1(VALU_DEP_3)
	v_sub_co_u32 v7, vcc_lo, v4, v5
	v_sub_co_ci_u32_e32 v3, vcc_lo, v3, v2, vcc_lo
	s_delay_alu instid0(VALU_DEP_3) | instskip(NEXT) | instid1(VALU_DEP_1)
	v_mov_b32_e32 v2, v1
                                        ; implicit-def: $vgpr4_vgpr5
	v_cmpx_ne_u64_e32 0, v[2:3]
	s_xor_b32 s2, exec_lo, s2
	s_cbranch_execz .LBB4_137
; %bb.136:
	v_cvt_f32_u32_e32 v2, s1
	s_sub_u32 s3, 0, s1
	s_subb_u32 s0, 0, s0
	s_delay_alu instid0(VALU_DEP_1) | instskip(NEXT) | instid1(VALU_DEP_1)
	v_fmamk_f32 v2, 0, 0x4f800000, v2
	v_rcp_f32_e32 v2, v2
	s_waitcnt_depctr 0xfff
	v_mul_f32_e32 v2, 0x5f7ffffc, v2
	s_delay_alu instid0(VALU_DEP_1) | instskip(NEXT) | instid1(VALU_DEP_1)
	v_mul_f32_e32 v4, 0x2f800000, v2
	v_trunc_f32_e32 v4, v4
	s_delay_alu instid0(VALU_DEP_1) | instskip(SKIP_1) | instid1(VALU_DEP_2)
	v_fmamk_f32 v2, v4, 0xcf800000, v2
	v_cvt_u32_f32_e32 v4, v4
	v_cvt_u32_f32_e32 v2, v2
	s_delay_alu instid0(VALU_DEP_2) | instskip(NEXT) | instid1(VALU_DEP_2)
	v_mul_lo_u32 v5, s3, v4
	v_mul_hi_u32 v8, s3, v2
	v_mul_lo_u32 v9, s0, v2
	s_delay_alu instid0(VALU_DEP_2) | instskip(SKIP_1) | instid1(VALU_DEP_2)
	v_add_nc_u32_e32 v5, v8, v5
	v_mul_lo_u32 v8, s3, v2
	v_add_nc_u32_e32 v5, v5, v9
	s_delay_alu instid0(VALU_DEP_2) | instskip(NEXT) | instid1(VALU_DEP_2)
	v_mul_hi_u32 v9, v2, v8
	v_mul_lo_u32 v10, v2, v5
	v_mul_hi_u32 v11, v2, v5
	v_mul_hi_u32 v12, v4, v8
	v_mul_lo_u32 v8, v4, v8
	v_mul_hi_u32 v13, v4, v5
	v_mul_lo_u32 v5, v4, v5
	v_add_co_u32 v9, vcc_lo, v9, v10
	v_add_co_ci_u32_e32 v10, vcc_lo, 0, v11, vcc_lo
	s_delay_alu instid0(VALU_DEP_2) | instskip(NEXT) | instid1(VALU_DEP_2)
	v_add_co_u32 v8, vcc_lo, v9, v8
	v_add_co_ci_u32_e32 v8, vcc_lo, v10, v12, vcc_lo
	v_add_co_ci_u32_e32 v9, vcc_lo, 0, v13, vcc_lo
	s_delay_alu instid0(VALU_DEP_2) | instskip(NEXT) | instid1(VALU_DEP_2)
	v_add_co_u32 v5, vcc_lo, v8, v5
	v_add_co_ci_u32_e32 v8, vcc_lo, 0, v9, vcc_lo
	s_delay_alu instid0(VALU_DEP_2) | instskip(NEXT) | instid1(VALU_DEP_2)
	v_add_co_u32 v2, vcc_lo, v2, v5
	v_add_co_ci_u32_e32 v4, vcc_lo, v4, v8, vcc_lo
	s_delay_alu instid0(VALU_DEP_2) | instskip(SKIP_1) | instid1(VALU_DEP_3)
	v_mul_hi_u32 v5, s3, v2
	v_mul_lo_u32 v9, s0, v2
	v_mul_lo_u32 v8, s3, v4
	s_delay_alu instid0(VALU_DEP_1) | instskip(SKIP_1) | instid1(VALU_DEP_2)
	v_add_nc_u32_e32 v5, v5, v8
	v_mul_lo_u32 v8, s3, v2
	v_add_nc_u32_e32 v5, v5, v9
	s_delay_alu instid0(VALU_DEP_2) | instskip(NEXT) | instid1(VALU_DEP_2)
	v_mul_hi_u32 v9, v2, v8
	v_mul_lo_u32 v10, v2, v5
	v_mul_hi_u32 v11, v2, v5
	v_mul_hi_u32 v12, v4, v8
	v_mul_lo_u32 v8, v4, v8
	v_mul_hi_u32 v13, v4, v5
	v_mul_lo_u32 v5, v4, v5
	v_add_co_u32 v9, vcc_lo, v9, v10
	v_add_co_ci_u32_e32 v10, vcc_lo, 0, v11, vcc_lo
	s_delay_alu instid0(VALU_DEP_2) | instskip(NEXT) | instid1(VALU_DEP_2)
	v_add_co_u32 v8, vcc_lo, v9, v8
	v_add_co_ci_u32_e32 v8, vcc_lo, v10, v12, vcc_lo
	v_add_co_ci_u32_e32 v9, vcc_lo, 0, v13, vcc_lo
	s_delay_alu instid0(VALU_DEP_2) | instskip(NEXT) | instid1(VALU_DEP_2)
	v_add_co_u32 v5, vcc_lo, v8, v5
	v_add_co_ci_u32_e32 v8, vcc_lo, 0, v9, vcc_lo
	s_delay_alu instid0(VALU_DEP_2) | instskip(NEXT) | instid1(VALU_DEP_2)
	v_add_co_u32 v2, vcc_lo, v2, v5
	v_add_co_ci_u32_e32 v12, vcc_lo, v4, v8, vcc_lo
	s_delay_alu instid0(VALU_DEP_2) | instskip(SKIP_1) | instid1(VALU_DEP_3)
	v_mul_hi_u32 v13, v7, v2
	v_mad_u64_u32 v[8:9], null, v3, v2, 0
	v_mad_u64_u32 v[4:5], null, v7, v12, 0
	;; [unrolled: 1-line block ×3, first 2 shown]
	s_delay_alu instid0(VALU_DEP_2) | instskip(NEXT) | instid1(VALU_DEP_3)
	v_add_co_u32 v2, vcc_lo, v13, v4
	v_add_co_ci_u32_e32 v4, vcc_lo, 0, v5, vcc_lo
	s_delay_alu instid0(VALU_DEP_2) | instskip(NEXT) | instid1(VALU_DEP_2)
	v_add_co_u32 v2, vcc_lo, v2, v8
	v_add_co_ci_u32_e32 v2, vcc_lo, v4, v9, vcc_lo
	v_add_co_ci_u32_e32 v4, vcc_lo, 0, v11, vcc_lo
	s_delay_alu instid0(VALU_DEP_2) | instskip(NEXT) | instid1(VALU_DEP_2)
	v_add_co_u32 v10, vcc_lo, v2, v10
	v_add_co_ci_u32_e32 v11, vcc_lo, 0, v4, vcc_lo
	s_delay_alu instid0(VALU_DEP_2) | instskip(NEXT) | instid1(VALU_DEP_1)
	v_mad_u64_u32 v[4:5], null, s1, v10, 0
	v_mov_b32_e32 v2, v5
	s_delay_alu instid0(VALU_DEP_1) | instskip(NEXT) | instid1(VALU_DEP_3)
	v_mad_u64_u32 v[8:9], null, s1, v11, v[2:3]
	v_sub_co_u32 v2, vcc_lo, v7, v4
	s_delay_alu instid0(VALU_DEP_2) | instskip(NEXT) | instid1(VALU_DEP_2)
	v_sub_co_ci_u32_e32 v3, vcc_lo, v3, v8, vcc_lo
	v_sub_co_u32 v4, vcc_lo, v2, s1
	s_delay_alu instid0(VALU_DEP_2) | instskip(NEXT) | instid1(VALU_DEP_2)
	v_subrev_co_ci_u32_e32 v5, vcc_lo, 0, v3, vcc_lo
	v_cmp_le_u32_e32 vcc_lo, s1, v4
	v_cmp_eq_u32_e64 s0, 0, v3
	v_cndmask_b32_e64 v4, 0, -1, vcc_lo
	v_add_co_u32 v7, vcc_lo, v10, 2
	v_add_co_ci_u32_e32 v8, vcc_lo, 0, v11, vcc_lo
	v_cmp_le_u32_e32 vcc_lo, s1, v2
	v_cndmask_b32_e64 v2, 0, -1, vcc_lo
	v_cmp_eq_u32_e32 vcc_lo, 0, v5
	s_delay_alu instid0(VALU_DEP_2) | instskip(SKIP_3) | instid1(VALU_DEP_3)
	v_cndmask_b32_e64 v2, -1, v2, s0
	v_cndmask_b32_e32 v4, -1, v4, vcc_lo
	v_add_co_u32 v5, vcc_lo, v10, 1
	v_add_co_ci_u32_e32 v9, vcc_lo, 0, v11, vcc_lo
	v_cmp_ne_u32_e32 vcc_lo, 0, v4
	s_delay_alu instid0(VALU_DEP_2) | instskip(NEXT) | instid1(VALU_DEP_4)
	v_cndmask_b32_e32 v3, v9, v8, vcc_lo
	v_cndmask_b32_e32 v4, v5, v7, vcc_lo
	v_cmp_ne_u32_e32 vcc_lo, 0, v2
                                        ; implicit-def: $vgpr7
	s_delay_alu instid0(VALU_DEP_2)
	v_dual_cndmask_b32 v5, v11, v3 :: v_dual_cndmask_b32 v4, v10, v4
.LBB4_137:
	s_and_not1_saveexec_b32 s0, s2
	s_cbranch_execz .LBB4_139
; %bb.138:
	v_cvt_f32_u32_e32 v2, s1
	s_sub_i32 s2, 0, s1
	s_delay_alu instid0(VALU_DEP_1) | instskip(SKIP_2) | instid1(VALU_DEP_1)
	v_rcp_iflag_f32_e32 v2, v2
	s_waitcnt_depctr 0xfff
	v_mul_f32_e32 v2, 0x4f7ffffe, v2
	v_cvt_u32_f32_e32 v2, v2
	s_delay_alu instid0(VALU_DEP_1) | instskip(NEXT) | instid1(VALU_DEP_1)
	v_mul_lo_u32 v3, s2, v2
	v_mul_hi_u32 v3, v2, v3
	s_delay_alu instid0(VALU_DEP_1) | instskip(NEXT) | instid1(VALU_DEP_1)
	v_add_nc_u32_e32 v2, v2, v3
	v_mul_hi_u32 v2, v7, v2
	s_delay_alu instid0(VALU_DEP_1) | instskip(SKIP_1) | instid1(VALU_DEP_2)
	v_mul_lo_u32 v3, v2, s1
	v_add_nc_u32_e32 v4, 1, v2
	v_sub_nc_u32_e32 v3, v7, v3
	s_delay_alu instid0(VALU_DEP_1) | instskip(SKIP_1) | instid1(VALU_DEP_2)
	v_subrev_nc_u32_e32 v5, s1, v3
	v_cmp_le_u32_e32 vcc_lo, s1, v3
	v_cndmask_b32_e32 v3, v3, v5, vcc_lo
	v_dual_mov_b32 v5, 0 :: v_dual_cndmask_b32 v2, v2, v4
	s_delay_alu instid0(VALU_DEP_2) | instskip(NEXT) | instid1(VALU_DEP_2)
	v_cmp_le_u32_e32 vcc_lo, s1, v3
	v_add_nc_u32_e32 v4, 1, v2
	s_delay_alu instid0(VALU_DEP_1)
	v_cndmask_b32_e32 v4, v2, v4, vcc_lo
.LBB4_139:
	s_or_b32 exec_lo, exec_lo, s0
	s_delay_alu instid0(VALU_DEP_1) | instskip(SKIP_2) | instid1(VALU_DEP_3)
	v_add_co_u32 v2, vcc_lo, v4, v6
	v_add_co_ci_u32_e32 v3, vcc_lo, 0, v5, vcc_lo
	v_cmp_ne_u16_e64 s0, s28, 1
	v_add_co_u32 v2, vcc_lo, v2, 1
	s_delay_alu instid0(VALU_DEP_3) | instskip(SKIP_1) | instid1(VALU_DEP_1)
	v_add_co_ci_u32_e32 v3, vcc_lo, 0, v3, vcc_lo
                                        ; kill: def $vgpr4_vgpr5 killed $sgpr0_sgpr1 killed $exec
	s_mov_b32 s29, 0
                                        ; implicit-def: $sgpr2_sgpr3
                                        ; implicit-def: $sgpr4_sgpr5
	v_cmp_gt_u64_e32 vcc_lo, 2, v[2:3]
	v_mov_b32_e32 v5, v3
	s_or_b32 s8, vcc_lo, s0
                                        ; implicit-def: $sgpr0_sgpr1
	s_delay_alu instid0(SALU_CYCLE_1) | instskip(NEXT) | instid1(SALU_CYCLE_1)
	s_and_saveexec_b32 s9, s8
	s_xor_b32 s8, exec_lo, s9
	s_cbranch_execz .LBB4_141
; %bb.140:
	s_lshl_b64 s[0:1], s[14:15], 2
	s_mov_b32 s29, exec_lo
	s_or_b32 s0, s0, 2
	s_mul_i32 s1, s1, s6
	s_mul_i32 s2, s0, s7
	s_mul_hi_u32 s3, s0, s6
	s_mul_i32 s0, s0, s6
	s_add_i32 s2, s3, s2
	s_mov_b32 s3, 0
	s_add_i32 s1, s2, s1
	s_lshl_b32 s2, s28, 1
	s_lshl_b64 s[4:5], s[22:23], 2
                                        ; implicit-def: $vgpr2_vgpr3
                                        ; implicit-def: $vgpr5
.LBB4_141:
	s_or_saveexec_b32 s30, s8
	v_dual_mov_b32 v7, s1 :: v_dual_mov_b32 v6, s0
	v_dual_mov_b32 v9, s3 :: v_dual_mov_b32 v8, s2
	;; [unrolled: 1-line block ×3, first 2 shown]
	s_xor_b32 exec_lo, exec_lo, s30
	s_cbranch_execz .LBB4_145
; %bb.142:
	s_lshl_b64 s[0:1], s[14:15], 2
	v_dual_mov_b32 v9, 0 :: v_dual_and_b32 v4, -2, v2
	s_or_b32 s0, s0, 2
	v_dual_mov_b32 v11, v5 :: v_dual_lshlrev_b32 v6, 1, v0
	s_mul_i32 s2, s0, s7
	s_mul_hi_u32 s3, s0, s6
	s_mul_i32 s1, s1, s6
	s_add_i32 s2, s3, s2
	s_lshl_b64 s[24:25], s[22:23], 2
	s_lshl_b32 s31, s28, 2
	s_add_i32 s27, s2, s1
	s_mul_i32 s26, s0, s6
	s_add_u32 s0, s16, s22
	v_add_co_u32 v12, s4, s18, v6
	s_addc_u32 s1, s17, s23
	v_add_co_u32 v6, s0, s0, v0
	v_add_co_ci_u32_e64 v13, null, s19, 0, s4
	v_add_co_ci_u32_e64 v7, null, s1, 0, s0
	v_mov_b32_e32 v10, v4
	s_mov_b32 s15, 0
	s_lshl_b32 s14, s28, 1
	s_mov_b32 s34, 0x43e00000
	s_mov_b32 s33, s15
.LBB4_143:                              ; =>This Inner Loop Header: Depth=1
	v_add_co_u32 v14, vcc_lo, v12, s24
	v_add_co_ci_u32_e32 v15, vcc_lo, s25, v13, vcc_lo
	v_add_co_u32 v16, vcc_lo, v12, s26
	v_add_co_ci_u32_e32 v17, vcc_lo, s27, v13, vcc_lo
	v_add_co_u32 v10, vcc_lo, v10, -2
	s_clause 0x1
	global_load_b32 v8, v[14:15], off
	global_load_b32 v14, v[16:17], off
	v_mov_b32_e32 v15, v9
	v_mov_b32_e32 v17, v9
	v_add_co_ci_u32_e32 v11, vcc_lo, -1, v11, vcc_lo
	v_add_co_u32 v12, vcc_lo, v12, s31
	v_add_co_ci_u32_e32 v13, vcc_lo, 0, v13, vcc_lo
	v_mov_b32_e32 v21, v9
	v_mov_b32_e32 v23, v9
	v_cmp_eq_u64_e64 s0, 0, v[10:11]
	s_waitcnt vmcnt(1)
	v_lshlrev_b32_e32 v16, 16, v8
	v_and_b32_e32 v8, 0xffff0000, v8
	s_waitcnt vmcnt(0)
	v_lshlrev_b32_e32 v20, 16, v14
	v_and_b32_e32 v14, 0xffff0000, v14
	v_xor_b32_e32 v22, 0x80000000, v16
	v_xor_b32_e32 v24, 0x80000000, v8
	v_cmp_o_f32_e64 s1, v16, v16
	v_cmp_o_f32_e32 vcc_lo, v8, v8
	s_delay_alu instid0(VALU_DEP_4) | instskip(NEXT) | instid1(VALU_DEP_4)
	v_bfe_u32 v28, v22, 16, 1
	v_bfe_u32 v30, v24, 16, 1
	s_delay_alu instid0(VALU_DEP_2) | instskip(NEXT) | instid1(VALU_DEP_2)
	v_add3_u32 v22, v22, v28, 0x7fff
	v_add3_u32 v24, v24, v30, 0x7fff
	v_mov_b32_e32 v25, v9
	s_delay_alu instid0(VALU_DEP_3) | instskip(NEXT) | instid1(VALU_DEP_3)
	v_dual_mov_b32 v27, v9 :: v_dual_and_b32 v22, 0xffff0000, v22
	v_dual_mov_b32 v29, v9 :: v_dual_and_b32 v24, 0xffff0000, v24
	s_delay_alu instid0(VALU_DEP_2) | instskip(NEXT) | instid1(VALU_DEP_2)
	v_cndmask_b32_e64 v22, 0x7fc00000, v22, s1
	v_dual_cndmask_b32 v24, 0x7fc00000, v24 :: v_dual_mov_b32 v31, v9
	s_delay_alu instid0(VALU_DEP_2) | instskip(NEXT) | instid1(VALU_DEP_2)
	v_dual_mov_b32 v33, v9 :: v_dual_mul_f32 v28, 0x3fb8aa3b, v22
	v_mul_f32_e32 v30, 0x3fb8aa3b, v24
	v_cmp_ngt_f32_e64 s1, 0xc2ce8ed0, v22
	v_cmp_ngt_f32_e32 vcc_lo, 0xc2ce8ed0, v24
	s_delay_alu instid0(VALU_DEP_4)
	v_fma_f32 v32, 0x3fb8aa3b, v22, -v28
	v_rndne_f32_e32 v35, v28
	v_fma_f32 v37, 0x3fb8aa3b, v24, -v30
	v_rndne_f32_e32 v38, v30
	v_mov_b32_e32 v18, v9
	v_fmac_f32_e32 v32, 0x32a5705f, v22
	s_delay_alu instid0(VALU_DEP_4) | instskip(NEXT) | instid1(VALU_DEP_4)
	v_dual_sub_f32 v28, v28, v35 :: v_dual_fmac_f32 v37, 0x32a5705f, v24
	v_sub_f32_e32 v30, v30, v38
	v_cvt_i32_f32_e32 v35, v35
	v_cvt_i32_f32_e32 v38, v38
	s_delay_alu instid0(VALU_DEP_4) | instskip(NEXT) | instid1(VALU_DEP_4)
	v_add_f32_e32 v28, v28, v32
	v_add_f32_e32 v30, v30, v37
	s_delay_alu instid0(VALU_DEP_2) | instskip(NEXT) | instid1(VALU_DEP_1)
	v_exp_f32_e32 v28, v28
	v_exp_f32_e32 v30, v30
	s_waitcnt_depctr 0xfff
	v_ldexp_f32 v28, v28, v35
	v_ldexp_f32 v30, v30, v38
	s_delay_alu instid0(VALU_DEP_2) | instskip(SKIP_1) | instid1(VALU_DEP_3)
	v_cndmask_b32_e64 v28, 0, v28, s1
	v_cmp_nlt_f32_e64 s1, 0x42b17218, v22
	v_cndmask_b32_e32 v30, 0, v30, vcc_lo
	v_cmp_nlt_f32_e32 vcc_lo, 0x42b17218, v24
	s_delay_alu instid0(VALU_DEP_3) | instskip(NEXT) | instid1(VALU_DEP_3)
	v_cndmask_b32_e64 v22, 0x7f800000, v28, s1
	v_cndmask_b32_e32 v24, 0x7f800000, v30, vcc_lo
	s_delay_alu instid0(VALU_DEP_2) | instskip(NEXT) | instid1(VALU_DEP_2)
	v_add_f32_e32 v22, 1.0, v22
	v_add_f32_e32 v24, 1.0, v24
	s_delay_alu instid0(VALU_DEP_2) | instskip(NEXT) | instid1(VALU_DEP_2)
	v_div_scale_f32 v28, null, v22, v22, v16
	v_div_scale_f32 v32, null, v24, v24, v8
	v_div_scale_f32 v30, vcc_lo, v16, v22, v16
	s_delay_alu instid0(VALU_DEP_3) | instskip(NEXT) | instid1(VALU_DEP_2)
	v_rcp_f32_e32 v37, v28
	v_rcp_f32_e32 v38, v32
	v_div_scale_f32 v35, s1, v8, v24, v8
	s_waitcnt_depctr 0xfff
	v_fma_f32 v39, -v28, v37, 1.0
	v_fma_f32 v40, -v32, v38, 1.0
	s_delay_alu instid0(VALU_DEP_2) | instskip(NEXT) | instid1(VALU_DEP_2)
	v_dual_mov_b32 v26, v9 :: v_dual_fmac_f32 v37, v39, v37
	v_fmac_f32_e32 v38, v40, v38
	s_delay_alu instid0(VALU_DEP_2) | instskip(NEXT) | instid1(VALU_DEP_2)
	v_dual_mov_b32 v34, v9 :: v_dual_mul_f32 v39, v30, v37
	v_mul_f32_e32 v40, v35, v38
	s_delay_alu instid0(VALU_DEP_2) | instskip(NEXT) | instid1(VALU_DEP_2)
	v_fma_f32 v41, -v28, v39, v30
	v_fma_f32 v42, -v32, v40, v35
	s_delay_alu instid0(VALU_DEP_1) | instskip(NEXT) | instid1(VALU_DEP_1)
	v_dual_fmac_f32 v39, v41, v37 :: v_dual_fmac_f32 v40, v42, v38
	v_fma_f32 v28, -v28, v39, v30
	s_delay_alu instid0(VALU_DEP_2) | instskip(NEXT) | instid1(VALU_DEP_2)
	v_fma_f32 v30, -v32, v40, v35
	v_div_fmas_f32 v28, v28, v37, v39
	s_mov_b32 vcc_lo, s1
	s_delay_alu instid0(VALU_DEP_2) | instskip(NEXT) | instid1(VALU_DEP_2)
	v_div_fmas_f32 v30, v30, v38, v40
	v_div_fixup_f32 v16, v28, v22, v16
	s_delay_alu instid0(VALU_DEP_2) | instskip(NEXT) | instid1(VALU_DEP_2)
	v_div_fixup_f32 v8, v30, v24, v8
	v_bfe_u32 v22, v16, 16, 1
	v_cmp_o_f32_e32 vcc_lo, v16, v16
	s_delay_alu instid0(VALU_DEP_3) | instskip(SKIP_1) | instid1(VALU_DEP_4)
	v_bfe_u32 v24, v8, 16, 1
	v_cmp_o_f32_e64 s1, v8, v8
	v_add3_u32 v22, v16, v22, 0x7fff
	s_delay_alu instid0(VALU_DEP_3) | instskip(NEXT) | instid1(VALU_DEP_2)
	v_add3_u32 v24, v8, v24, 0x7fff
	v_and_b32_e32 v22, 0xffff0000, v22
	s_delay_alu instid0(VALU_DEP_2) | instskip(NEXT) | instid1(VALU_DEP_2)
	v_and_b32_e32 v16, 0xffff0000, v24
	v_cndmask_b32_e32 v8, 0x7fc00000, v22, vcc_lo
	s_delay_alu instid0(VALU_DEP_2) | instskip(NEXT) | instid1(VALU_DEP_2)
	v_cndmask_b32_e64 v16, 0x7fc00000, v16, s1
	v_mul_f32_e32 v8, v8, v20
	s_delay_alu instid0(VALU_DEP_2) | instskip(NEXT) | instid1(VALU_DEP_2)
	v_mul_f32_e32 v14, v16, v14
	v_bfe_u32 v16, v8, 16, 1
	v_cmp_o_f32_e32 vcc_lo, v8, v8
	s_delay_alu instid0(VALU_DEP_3) | instskip(SKIP_1) | instid1(VALU_DEP_4)
	v_bfe_u32 v20, v14, 16, 1
	v_cmp_o_f32_e64 s1, v14, v14
	v_add3_u32 v16, v8, v16, 0x7fff
	s_delay_alu instid0(VALU_DEP_3) | instskip(NEXT) | instid1(VALU_DEP_2)
	v_add3_u32 v20, v14, v20, 0x7fff
	v_and_b32_e32 v16, 0xffff0000, v16
	s_delay_alu instid0(VALU_DEP_2) | instskip(NEXT) | instid1(VALU_DEP_2)
	v_and_b32_e32 v8, 0xffff0000, v20
	v_cndmask_b32_e32 v14, 0x7fc00000, v16, vcc_lo
	s_delay_alu instid0(VALU_DEP_2) | instskip(NEXT) | instid1(VALU_DEP_2)
	v_cndmask_b32_e64 v8, 0x7fc00000, v8, s1
	v_mul_f32_e32 v14, v19, v14
	s_delay_alu instid0(VALU_DEP_2) | instskip(NEXT) | instid1(VALU_DEP_2)
	v_mul_f32_e32 v8, v19, v8
	v_minmax_f32 v14, v14, s34, 0xc3e00000
	s_delay_alu instid0(VALU_DEP_2) | instskip(NEXT) | instid1(VALU_DEP_2)
	v_minmax_f32 v28, v8, s34, 0xc3e00000
	v_bfe_u32 v30, v14, 23, 8
	v_and_b32_e32 v16, 0x7f800000, v14
	v_and_b32_e32 v8, 0x7fffff, v14
	v_lshrrev_b32_e32 v32, 24, v14
	v_and_b32_e32 v22, 0x7fffffff, v14
	v_bfe_u32 v35, v28, 23, 8
	v_and_b32_e32 v20, 0x7f800000, v28
	v_cmp_eq_u32_e32 vcc_lo, 0, v14
	v_cmp_ne_u32_e64 s1, 0, v14
	v_and_b32_e32 v14, 0x7fffff, v28
	v_lshrrev_b32_e32 v37, 24, v28
	v_and_b32_e32 v24, 0x7fffffff, v28
	v_cmp_ne_u64_e64 s4, 0x7f800000, v[16:17]
	v_sub_nc_u32_e64 v16, 0x79, v30 clamp
	v_cmp_eq_u32_e64 s8, 0, v30
	v_and_b32_e32 v40, 0x80, v32
	v_cmp_lt_u64_e64 s5, 0x43e00000, v[22:23]
	v_cmp_gt_u64_e64 s6, 0x43e00001, v[22:23]
	v_or_b32_e32 v17, 0x800000, v8
	v_cmp_ne_u64_e64 s9, 0x7f800000, v[20:21]
	v_sub_nc_u32_e64 v20, 0x79, v35 clamp
	v_cmp_eq_u32_e64 s12, 0, v35
	v_dual_mov_b32 v36, v9 :: v_dual_and_b32 v41, 0x80, v37
	v_add_nc_u32_e32 v22, 0xffffff88, v30
	v_cmp_eq_u64_e64 s7, 0, v[8:9]
	v_cmp_lt_u64_e64 s10, 0x43e00000, v[24:25]
	v_cmp_gt_u64_e64 s11, 0x43e00001, v[24:25]
	v_or_b32_e32 v21, 0x800000, v14
	v_add_nc_u32_e32 v24, 0xffffff88, v35
	v_cndmask_b32_e64 v16, v16, 0x78, s8
	v_cmp_eq_u64_e64 s13, 0, v[14:15]
	v_or_b32_e32 v23, 0x7f, v32
	v_or_b32_e32 v30, 0x7e, v40
	v_cndmask_b32_e64 v25, v17, v8, s8
	v_cndmask_b32_e64 v35, v20, 0x78, s12
	s_and_b32 s6, s4, s6
	s_and_b32 s4, s4, s5
	v_cmp_eq_u32_e64 s2, 0, v28
	v_cmp_ne_u32_e64 s3, 0, v28
	v_or_b32_e32 v28, 0x7f, v37
	v_cndmask_b32_e64 v8, v22, 0xffffff89, s8
	v_or_b32_e32 v22, 0x7e, v41
	v_cndmask_b32_e64 v17, v21, v14, s12
	v_cndmask_b32_e64 v42, v24, 0xffffff89, s12
	v_add_nc_u32_e32 v24, 20, v16
	s_and_b32 s5, s9, s11
	s_and_b32 s8, s6, s1
	;; [unrolled: 1-line block ×3, first 2 shown]
	s_or_b32 s1, s4, s7
	v_lshrrev_b64 v[14:15], v16, v[25:26]
	v_cndmask_b32_e64 v26, v23, v30, s1
	s_and_b32 s1, s6, vcc_lo
	s_or_b32 vcc_lo, s9, s13
	v_add_nc_u32_e32 v37, 20, v35
	v_lshrrev_b64 v[20:21], v35, v[17:18]
	v_cndmask_b32_e32 v18, v28, v22, vcc_lo
	v_lshlrev_b64 v[22:23], v24, -1
	v_cndmask_b32_e64 v43, v26, 0, s1
	v_lshlrev_b64 v[37:38], v37, -1
	v_lshrrev_b32_e32 v26, 23, v14
	v_add_nc_u32_e32 v32, 19, v16
	v_add_nc_u32_e32 v39, 19, v35
	v_not_b32_e32 v22, v22
	v_and_b32_e32 v30, 0x100000, v14
	v_lshrrev_b32_e32 v28, 23, v20
	v_add3_u32 v8, v8, v16, v26
	v_not_b32_e32 v16, v37
	v_lshlrev_b64 v[23:24], v32, 1
	v_and_b32_e32 v26, v25, v22
	v_lshlrev_b64 v[38:39], v39, 1
	s_and_b32 s2, s5, s2
	v_and_b32_e32 v32, 0x100000, v20
	v_cmp_eq_u64_e32 vcc_lo, 0, v[30:31]
	v_add3_u32 v30, v42, v35, v28
	v_and_b32_e32 v28, v17, v16
	v_cndmask_b32_e64 v18, v18, 0, s2
	v_cmp_eq_u64_e64 s2, v[26:27], v[23:24]
	v_cmp_eq_u64_e64 s1, 0, v[32:33]
	v_add_nc_u32_e32 v22, -1, v8
	v_cmp_eq_u64_e64 s4, v[28:29], v[38:39]
	v_add_nc_u32_e32 v25, -1, v30
	s_and_b32 s7, s5, s3
	s_and_b32 vcc_lo, vcc_lo, s2
	v_cmp_ne_u32_e64 s3, 0, v22
	v_subrev_co_ci_u32_e32 v16, vcc_lo, 0, v14, vcc_lo
	s_and_b32 vcc_lo, s1, s4
	v_cmp_ne_u32_e64 s5, 0, v25
	v_subrev_co_ci_u32_e32 v17, vcc_lo, 0, v20, vcc_lo
	s_delay_alu instid0(VALU_DEP_3) | instskip(NEXT) | instid1(VALU_DEP_2)
	v_and_b32_e32 v16, 0xfffff, v16
	v_and_b32_e32 v17, 0xfffff, v17
	s_delay_alu instid0(VALU_DEP_2) | instskip(SKIP_1) | instid1(VALU_DEP_3)
	v_add_co_u32 v14, vcc_lo, v16, v14
	v_add_co_ci_u32_e32 v15, vcc_lo, 0, v15, vcc_lo
	v_add_co_u32 v16, vcc_lo, v17, v20
	s_delay_alu instid0(VALU_DEP_3) | instskip(SKIP_1) | instid1(VALU_DEP_3)
	v_and_b32_e32 v33, 0x1000000, v14
	v_add_co_ci_u32_e32 v17, vcc_lo, 0, v21, vcc_lo
	v_and_b32_e32 v35, 0x1000000, v16
	v_bfe_u32 v21, v14, 23, 1
	s_delay_alu instid0(VALU_DEP_4)
	v_cmp_eq_u64_e32 vcc_lo, 0, v[33:34]
	v_bfe_u32 v24, v16, 23, 1
	v_lshrrev_b32_e32 v20, 24, v14
	v_cmp_eq_u64_e64 s1, 0, v[35:36]
	v_lshrrev_b32_e32 v23, 24, v16
	v_cndmask_b32_e32 v8, v8, v22, vcc_lo
	s_and_b32 vcc_lo, s8, s3
	s_delay_alu instid0(VALU_DEP_3) | instskip(SKIP_1) | instid1(VALU_DEP_2)
	v_cndmask_b32_e64 v22, v30, v25, s1
	s_and_b32 s1, s7, s5
	v_cndmask_b32_e32 v8, v21, v8, vcc_lo
	v_cndmask_b32_e64 v21, 0, 1, vcc_lo
	s_delay_alu instid0(VALU_DEP_3) | instskip(SKIP_1) | instid1(VALU_DEP_4)
	v_cndmask_b32_e64 v22, v24, v22, s1
	v_cndmask_b32_e64 v24, 0, 1, s1
	v_cmp_gt_i32_e64 s2, 16, v8
	s_delay_alu instid0(VALU_DEP_4)
	v_and_b32_e32 v20, v21, v20
	v_cmp_eq_u32_e32 vcc_lo, 0, v8
	v_cmp_gt_i32_e64 s3, 16, v22
	v_and_b32_e32 v23, v24, v23
	v_min_i32_e32 v21, 15, v8
	v_lshrrev_b64 v[14:15], v20, v[14:15]
	v_min_i32_e32 v24, 15, v22
	v_cmp_eq_u32_e64 s1, 0, v22
	v_lshrrev_b64 v[16:17], v23, v[16:17]
	v_lshl_or_b32 v20, v21, 3, v40
	v_lshrrev_b64 v[14:15], 20, v[14:15]
	v_lshl_or_b32 v21, v24, 3, v41
	s_delay_alu instid0(VALU_DEP_4) | instskip(NEXT) | instid1(VALU_DEP_3)
	v_lshrrev_b64 v[16:17], 20, v[16:17]
	v_cndmask_b32_e64 v15, 0, v15, s2
	s_delay_alu instid0(VALU_DEP_4) | instskip(NEXT) | instid1(VALU_DEP_3)
	v_cndmask_b32_e64 v14, 7, v14, s2
	v_cndmask_b32_e64 v17, 0, v17, s3
	s_delay_alu instid0(VALU_DEP_4) | instskip(NEXT) | instid1(VALU_DEP_3)
	v_cndmask_b32_e64 v16, 7, v16, s3
	v_cmp_eq_u64_e64 s2, 0, v[14:15]
	v_and_or_b32 v8, v14, 7, v20
	s_delay_alu instid0(VALU_DEP_3) | instskip(SKIP_1) | instid1(VALU_DEP_4)
	v_cmp_eq_u64_e64 s3, 0, v[16:17]
	v_and_or_b32 v14, v16, 7, v21
	s_and_b32 s2, vcc_lo, s2
	s_delay_alu instid0(SALU_CYCLE_1) | instskip(NEXT) | instid1(VALU_DEP_2)
	s_and_b32 vcc_lo, s8, s2
	s_and_b32 s1, s1, s3
	v_cndmask_b32_e32 v15, v43, v40, vcc_lo
	s_and_b32 vcc_lo, s7, s1
	s_xor_b32 s3, s2, -1
	v_cndmask_b32_e32 v16, v18, v41, vcc_lo
	s_xor_b32 s1, s1, -1
	s_and_b32 vcc_lo, s8, s3
	s_and_b32 s1, s7, s1
	v_cndmask_b32_e32 v8, v15, v8, vcc_lo
	v_cndmask_b32_e64 v14, v16, v14, s1
	s_or_b32 s33, s0, s33
	s_delay_alu instid0(VALU_DEP_2) | instskip(NEXT) | instid1(VALU_DEP_2)
	v_and_b32_e32 v8, 0xff, v8
	v_lshlrev_b16 v14, 8, v14
	s_delay_alu instid0(VALU_DEP_1)
	v_or_b32_e32 v8, v8, v14
	global_store_b16 v[6:7], v8, off
	v_add_co_u32 v6, vcc_lo, v6, s14
	v_add_co_ci_u32_e32 v7, vcc_lo, 0, v7, vcc_lo
	s_and_not1_b32 exec_lo, exec_lo, s33
	s_cbranch_execnz .LBB4_143
; %bb.144:
	s_or_b32 exec_lo, exec_lo, s33
	v_mad_u64_u32 v[12:13], null, v4, s28, v[0:1]
	v_cmp_ne_u64_e32 vcc_lo, v[2:3], v[4:5]
	v_dual_mov_b32 v8, s14 :: v_dual_mov_b32 v9, s15
	v_dual_mov_b32 v10, s24 :: v_dual_mov_b32 v11, s25
	s_and_not1_b32 s0, s29, exec_lo
	s_delay_alu instid0(VALU_DEP_4) | instskip(SKIP_1) | instid1(SALU_CYCLE_1)
	v_mov_b32_e32 v0, v13
	s_and_b32 s1, vcc_lo, exec_lo
	s_or_b32 s29, s0, s1
	s_delay_alu instid0(VALU_DEP_1) | instskip(NEXT) | instid1(VALU_DEP_1)
	v_mad_u64_u32 v[6:7], null, v5, s28, v[0:1]
	v_dual_mov_b32 v13, v6 :: v_dual_mov_b32 v6, s26
	v_dual_mov_b32 v7, s27 :: v_dual_mov_b32 v0, v12
	s_delay_alu instid0(VALU_DEP_2)
	v_mov_b32_e32 v1, v13
.LBB4_145:
	s_or_b32 exec_lo, exec_lo, s30
	s_delay_alu instid0(SALU_CYCLE_1)
	s_and_b32 exec_lo, exec_lo, s29
	s_cbranch_execz .LBB4_164
; %bb.146:
	s_delay_alu instid0(VALU_DEP_1) | instskip(SKIP_4) | instid1(VALU_DEP_1)
	v_lshlrev_b64 v[2:3], 1, v[0:1]
	s_add_u32 s1, s16, s22
	s_addc_u32 s2, s17, s23
	s_mov_b32 s3, 0
	s_mov_b32 s4, 0x43e00000
	v_add_co_u32 v12, vcc_lo, s18, v2
	v_add_co_ci_u32_e32 v13, vcc_lo, s19, v3, vcc_lo
	v_mov_b32_e32 v3, 0
	s_branch .LBB4_148
.LBB4_147:                              ;   in Loop: Header=BB4_148 Depth=1
	s_or_b32 exec_lo, exec_lo, s0
	v_add_co_u32 v14, vcc_lo, s1, v0
	v_add_co_ci_u32_e32 v15, vcc_lo, s2, v1, vcc_lo
	v_add_co_u32 v0, vcc_lo, v0, s28
	v_add_co_ci_u32_e32 v1, vcc_lo, 0, v1, vcc_lo
	v_add_co_u32 v12, s0, v12, v8
	s_delay_alu instid0(VALU_DEP_1) | instskip(NEXT) | instid1(VALU_DEP_3)
	v_add_co_ci_u32_e64 v13, s0, v13, v9, s0
	v_cmp_le_i64_e32 vcc_lo, s[20:21], v[0:1]
	global_store_b8 v[14:15], v5, off
	s_or_b32 s3, vcc_lo, s3
	s_delay_alu instid0(SALU_CYCLE_1)
	s_and_not1_b32 exec_lo, exec_lo, s3
	s_cbranch_execz .LBB4_164
.LBB4_148:                              ; =>This Inner Loop Header: Depth=1
	s_delay_alu instid0(VALU_DEP_3) | instskip(NEXT) | instid1(VALU_DEP_3)
	v_add_co_u32 v4, vcc_lo, v12, v10
	v_add_co_ci_u32_e32 v5, vcc_lo, v13, v11, vcc_lo
	s_mov_b32 s0, exec_lo
	global_load_u16 v2, v[4:5], off
	v_add_co_u32 v4, vcc_lo, v12, v6
	v_add_co_ci_u32_e32 v5, vcc_lo, v13, v7, vcc_lo
	global_load_u16 v4, v[4:5], off
	s_waitcnt vmcnt(1)
	v_lshlrev_b32_e32 v2, 16, v2
	s_delay_alu instid0(VALU_DEP_1) | instskip(SKIP_3) | instid1(VALU_DEP_3)
	v_xor_b32_e32 v5, 0x80000000, v2
	v_cmp_o_f32_e32 vcc_lo, v2, v2
	s_waitcnt vmcnt(0)
	v_lshlrev_b32_e32 v4, 16, v4
	v_bfe_u32 v14, v5, 16, 1
	s_delay_alu instid0(VALU_DEP_1) | instskip(NEXT) | instid1(VALU_DEP_1)
	v_add3_u32 v5, v5, v14, 0x7fff
	v_and_b32_e32 v5, 0xffff0000, v5
	s_delay_alu instid0(VALU_DEP_1) | instskip(NEXT) | instid1(VALU_DEP_1)
	v_cndmask_b32_e32 v5, 0x7fc00000, v5, vcc_lo
	v_mul_f32_e32 v14, 0x3fb8aa3b, v5
	v_cmp_ngt_f32_e32 vcc_lo, 0xc2ce8ed0, v5
	s_delay_alu instid0(VALU_DEP_2) | instskip(SKIP_1) | instid1(VALU_DEP_1)
	v_fma_f32 v15, 0x3fb8aa3b, v5, -v14
	v_rndne_f32_e32 v16, v14
	v_dual_fmac_f32 v15, 0x32a5705f, v5 :: v_dual_sub_f32 v14, v14, v16
	s_delay_alu instid0(VALU_DEP_1) | instskip(SKIP_1) | instid1(VALU_DEP_2)
	v_add_f32_e32 v14, v14, v15
	v_cvt_i32_f32_e32 v15, v16
	v_exp_f32_e32 v14, v14
	s_waitcnt_depctr 0xfff
	v_ldexp_f32 v14, v14, v15
	s_delay_alu instid0(VALU_DEP_1) | instskip(SKIP_1) | instid1(VALU_DEP_2)
	v_cndmask_b32_e32 v14, 0, v14, vcc_lo
	v_cmp_nlt_f32_e32 vcc_lo, 0x42b17218, v5
	v_cndmask_b32_e32 v5, 0x7f800000, v14, vcc_lo
	s_delay_alu instid0(VALU_DEP_1) | instskip(NEXT) | instid1(VALU_DEP_1)
	v_add_f32_e32 v5, 1.0, v5
	v_div_scale_f32 v14, null, v5, v5, v2
	v_div_scale_f32 v17, vcc_lo, v2, v5, v2
	s_delay_alu instid0(VALU_DEP_2) | instskip(SKIP_2) | instid1(VALU_DEP_1)
	v_rcp_f32_e32 v15, v14
	s_waitcnt_depctr 0xfff
	v_fma_f32 v16, -v14, v15, 1.0
	v_fmac_f32_e32 v15, v16, v15
	s_delay_alu instid0(VALU_DEP_1) | instskip(NEXT) | instid1(VALU_DEP_1)
	v_mul_f32_e32 v16, v17, v15
	v_fma_f32 v18, -v14, v16, v17
	s_delay_alu instid0(VALU_DEP_1) | instskip(NEXT) | instid1(VALU_DEP_1)
	v_fmac_f32_e32 v16, v18, v15
	v_fma_f32 v14, -v14, v16, v17
	v_mov_b32_e32 v17, v3
	s_delay_alu instid0(VALU_DEP_2) | instskip(NEXT) | instid1(VALU_DEP_1)
	v_div_fmas_f32 v14, v14, v15, v16
	v_div_fixup_f32 v2, v14, v5, v2
	s_delay_alu instid0(VALU_DEP_1) | instskip(SKIP_1) | instid1(VALU_DEP_2)
	v_bfe_u32 v5, v2, 16, 1
	v_cmp_o_f32_e32 vcc_lo, v2, v2
	v_add3_u32 v5, v2, v5, 0x7fff
	s_delay_alu instid0(VALU_DEP_1) | instskip(NEXT) | instid1(VALU_DEP_1)
	v_and_b32_e32 v5, 0xffff0000, v5
	v_cndmask_b32_e32 v2, 0x7fc00000, v5, vcc_lo
	s_delay_alu instid0(VALU_DEP_1) | instskip(NEXT) | instid1(VALU_DEP_1)
	v_mul_f32_e32 v2, v2, v4
	v_bfe_u32 v4, v2, 16, 1
	v_cmp_o_f32_e32 vcc_lo, v2, v2
	s_delay_alu instid0(VALU_DEP_2) | instskip(NEXT) | instid1(VALU_DEP_1)
	v_add3_u32 v4, v2, v4, 0x7fff
	v_and_b32_e32 v4, 0xffff0000, v4
	s_delay_alu instid0(VALU_DEP_1) | instskip(NEXT) | instid1(VALU_DEP_1)
	v_cndmask_b32_e32 v2, 0x7fc00000, v4, vcc_lo
	v_mul_f32_e32 v2, v19, v2
	s_delay_alu instid0(VALU_DEP_1) | instskip(NEXT) | instid1(VALU_DEP_1)
	v_minmax_f32 v4, v2, s4, 0xc3e00000
	v_lshrrev_b32_e32 v15, 24, v4
	v_and_b32_e32 v16, 0x7f800000, v4
	v_and_b32_e32 v2, 0x7fffff, v4
	s_delay_alu instid0(VALU_DEP_3) | instskip(NEXT) | instid1(VALU_DEP_1)
	v_and_b32_e32 v14, 0x80, v15
	v_or_b32_e32 v5, 0x7e, v14
	s_delay_alu instid0(VALU_DEP_4)
	v_cmpx_ne_u64_e32 0x7f800000, v[16:17]
	s_xor_b32 s5, exec_lo, s0
	s_cbranch_execz .LBB4_162
; %bb.149:                              ;   in Loop: Header=BB4_148 Depth=1
	v_dual_mov_b32 v16, v3 :: v_dual_and_b32 v15, 0x7fffffff, v4
	s_mov_b32 s0, exec_lo
	s_delay_alu instid0(VALU_DEP_1)
	v_cmpx_gt_u64_e32 0x43e00001, v[15:16]
	s_xor_b32 s6, exec_lo, s0
	s_cbranch_execz .LBB4_161
; %bb.150:                              ;   in Loop: Header=BB4_148 Depth=1
	v_mov_b32_e32 v5, 0
	s_mov_b32 s7, exec_lo
	v_cmpx_ne_u32_e32 0, v4
	s_cbranch_execz .LBB4_160
; %bb.151:                              ;   in Loop: Header=BB4_148 Depth=1
	v_bfe_u32 v15, v4, 23, 8
	s_delay_alu instid0(VALU_DEP_1) | instskip(SKIP_2) | instid1(VALU_DEP_3)
	v_sub_nc_u32_e64 v4, 0x79, v15 clamp
	v_cmp_eq_u32_e32 vcc_lo, 0, v15
	v_add_nc_u32_e32 v23, 0xffffff88, v15
	v_cndmask_b32_e64 v20, v4, 0x78, vcc_lo
	v_or_b32_e32 v4, 0x800000, v2
	s_delay_alu instid0(VALU_DEP_1) | instskip(SKIP_1) | instid1(VALU_DEP_2)
	v_dual_cndmask_b32 v2, v4, v2 :: v_dual_add_nc_u32 v5, 20, v20
	v_add_nc_u32_e32 v16, 19, v20
	v_lshlrev_b64 v[4:5], v5, -1
	s_delay_alu instid0(VALU_DEP_3) | instskip(NEXT) | instid1(VALU_DEP_2)
	v_lshrrev_b64 v[17:18], v20, v[2:3]
	v_not_b32_e32 v21, v5
	s_delay_alu instid0(VALU_DEP_3) | instskip(SKIP_1) | instid1(VALU_DEP_3)
	v_not_b32_e32 v22, v4
	v_lshlrev_b64 v[4:5], v16, 1
	v_and_b32_e32 v16, 0, v21
	s_delay_alu instid0(VALU_DEP_3) | instskip(SKIP_3) | instid1(VALU_DEP_4)
	v_and_b32_e32 v15, v2, v22
	v_and_b32_e32 v2, 0x100000, v17
	v_cndmask_b32_e64 v21, v23, 0xffffff89, vcc_lo
	v_lshrrev_b32_e32 v22, 23, v17
	v_cmp_eq_u64_e32 vcc_lo, v[15:16], v[4:5]
	s_delay_alu instid0(VALU_DEP_4) | instskip(NEXT) | instid1(VALU_DEP_3)
	v_cmp_eq_u64_e64 s0, 0, v[2:3]
	v_add3_u32 v15, v21, v20, v22
	s_delay_alu instid0(VALU_DEP_2) | instskip(NEXT) | instid1(VALU_DEP_1)
	s_and_b32 vcc_lo, s0, vcc_lo
	v_add_nc_u32_e32 v16, -1, v15
	v_subrev_co_ci_u32_e32 v2, vcc_lo, 0, v17, vcc_lo
	s_delay_alu instid0(VALU_DEP_1) | instskip(NEXT) | instid1(VALU_DEP_1)
	v_and_b32_e32 v2, 0xfffff, v2
	v_add_co_u32 v4, s0, v2, v17
	s_delay_alu instid0(VALU_DEP_1)
	v_add_co_ci_u32_e64 v5, s0, 0, v18, s0
	s_mov_b32 s0, exec_lo
                                        ; implicit-def: $vgpr2
	v_cmpx_ne_u32_e32 0, v16
	s_xor_b32 s0, exec_lo, s0
; %bb.152:                              ;   in Loop: Header=BB4_148 Depth=1
	v_and_b32_e32 v2, 0x1000000, v4
	v_bfe_u32 v17, v4, 24, 1
	s_delay_alu instid0(VALU_DEP_2) | instskip(NEXT) | instid1(VALU_DEP_2)
	v_cmp_eq_u64_e32 vcc_lo, 0, v[2:3]
	v_lshrrev_b64 v[4:5], v17, v[4:5]
	v_cndmask_b32_e32 v2, v15, v16, vcc_lo
; %bb.153:                              ;   in Loop: Header=BB4_148 Depth=1
	s_and_not1_saveexec_b32 s0, s0
; %bb.154:                              ;   in Loop: Header=BB4_148 Depth=1
	s_delay_alu instid0(VALU_DEP_2)
	v_bfe_u32 v2, v4, 23, 1
; %bb.155:                              ;   in Loop: Header=BB4_148 Depth=1
	s_or_b32 exec_lo, exec_lo, s0
	s_delay_alu instid0(VALU_DEP_3) | instskip(NEXT) | instid1(VALU_DEP_2)
	v_lshrrev_b64 v[4:5], 20, v[4:5]
	v_cmp_gt_i32_e32 vcc_lo, 16, v2
	v_cmp_ne_u32_e64 s0, 0, v2
	s_delay_alu instid0(VALU_DEP_3) | instskip(NEXT) | instid1(VALU_DEP_1)
	v_dual_cndmask_b32 v5, 0, v5 :: v_dual_cndmask_b32 v4, 7, v4
	v_cmp_ne_u64_e32 vcc_lo, 0, v[4:5]
                                        ; implicit-def: $vgpr5
	s_delay_alu instid0(VALU_DEP_3) | instskip(NEXT) | instid1(SALU_CYCLE_1)
	s_or_b32 s0, s0, vcc_lo
	s_and_saveexec_b32 s8, s0
	s_delay_alu instid0(SALU_CYCLE_1)
	s_xor_b32 s0, exec_lo, s8
; %bb.156:                              ;   in Loop: Header=BB4_148 Depth=1
	v_min_i32_e32 v2, 15, v2
	s_delay_alu instid0(VALU_DEP_1) | instskip(NEXT) | instid1(VALU_DEP_1)
	v_lshl_or_b32 v2, v2, 3, v14
                                        ; implicit-def: $vgpr14
	v_and_or_b32 v5, v4, 7, v2
; %bb.157:                              ;   in Loop: Header=BB4_148 Depth=1
	s_and_not1_saveexec_b32 s0, s0
; %bb.158:                              ;   in Loop: Header=BB4_148 Depth=1
	v_mov_b32_e32 v5, v14
; %bb.159:                              ;   in Loop: Header=BB4_148 Depth=1
	s_or_b32 exec_lo, exec_lo, s0
.LBB4_160:                              ;   in Loop: Header=BB4_148 Depth=1
	s_delay_alu instid0(SALU_CYCLE_1)
	s_or_b32 exec_lo, exec_lo, s7
.LBB4_161:                              ;   in Loop: Header=BB4_148 Depth=1
	s_and_not1_saveexec_b32 s0, s6
	s_delay_alu instid0(SALU_CYCLE_1)
	s_or_b32 exec_lo, exec_lo, s0
                                        ; implicit-def: $vgpr15
.LBB4_162:                              ;   in Loop: Header=BB4_148 Depth=1
	s_and_not1_saveexec_b32 s0, s5
	s_cbranch_execz .LBB4_147
; %bb.163:                              ;   in Loop: Header=BB4_148 Depth=1
	v_cmp_eq_u64_e32 vcc_lo, 0, v[2:3]
	v_or_b32_e32 v4, 0x7f, v15
	s_delay_alu instid0(VALU_DEP_1)
	v_cndmask_b32_e32 v5, v4, v5, vcc_lo
	s_branch .LBB4_147
.LBB4_164:
	s_nop 0
	s_sendmsg sendmsg(MSG_DEALLOC_VGPRS)
	s_endpgm
	.section	.rodata,"a",@progbits
	.p2align	6, 0x0
	.amdhsa_kernel _ZN4vllm24act_and_mul_quant_kernelIN3c108BFloat16ETnPFT_RKS3_EXadL_ZNS_11silu_kernelIS2_EES3_S5_EENS1_13Float8_e4m3fnEEEvPT1_PS4_PKfi
		.amdhsa_group_segment_fixed_size 0
		.amdhsa_private_segment_fixed_size 0
		.amdhsa_kernarg_size 288
		.amdhsa_user_sgpr_count 14
		.amdhsa_user_sgpr_dispatch_ptr 0
		.amdhsa_user_sgpr_queue_ptr 0
		.amdhsa_user_sgpr_kernarg_segment_ptr 1
		.amdhsa_user_sgpr_dispatch_id 0
		.amdhsa_user_sgpr_private_segment_size 0
		.amdhsa_wavefront_size32 1
		.amdhsa_uses_dynamic_stack 0
		.amdhsa_enable_private_segment 0
		.amdhsa_system_sgpr_workgroup_id_x 1
		.amdhsa_system_sgpr_workgroup_id_y 1
		.amdhsa_system_sgpr_workgroup_id_z 0
		.amdhsa_system_sgpr_workgroup_info 0
		.amdhsa_system_vgpr_workitem_id 0
		.amdhsa_next_free_vgpr 44
		.amdhsa_next_free_sgpr 35
		.amdhsa_reserve_vcc 1
		.amdhsa_float_round_mode_32 0
		.amdhsa_float_round_mode_16_64 0
		.amdhsa_float_denorm_mode_32 3
		.amdhsa_float_denorm_mode_16_64 3
		.amdhsa_dx10_clamp 1
		.amdhsa_ieee_mode 1
		.amdhsa_fp16_overflow 0
		.amdhsa_workgroup_processor_mode 1
		.amdhsa_memory_ordered 1
		.amdhsa_forward_progress 0
		.amdhsa_shared_vgpr_count 0
		.amdhsa_exception_fp_ieee_invalid_op 0
		.amdhsa_exception_fp_denorm_src 0
		.amdhsa_exception_fp_ieee_div_zero 0
		.amdhsa_exception_fp_ieee_overflow 0
		.amdhsa_exception_fp_ieee_underflow 0
		.amdhsa_exception_fp_ieee_inexact 0
		.amdhsa_exception_int_div_zero 0
	.end_amdhsa_kernel
	.section	.text._ZN4vllm24act_and_mul_quant_kernelIN3c108BFloat16ETnPFT_RKS3_EXadL_ZNS_11silu_kernelIS2_EES3_S5_EENS1_13Float8_e4m3fnEEEvPT1_PS4_PKfi,"axG",@progbits,_ZN4vllm24act_and_mul_quant_kernelIN3c108BFloat16ETnPFT_RKS3_EXadL_ZNS_11silu_kernelIS2_EES3_S5_EENS1_13Float8_e4m3fnEEEvPT1_PS4_PKfi,comdat
.Lfunc_end4:
	.size	_ZN4vllm24act_and_mul_quant_kernelIN3c108BFloat16ETnPFT_RKS3_EXadL_ZNS_11silu_kernelIS2_EES3_S5_EENS1_13Float8_e4m3fnEEEvPT1_PS4_PKfi, .Lfunc_end4-_ZN4vllm24act_and_mul_quant_kernelIN3c108BFloat16ETnPFT_RKS3_EXadL_ZNS_11silu_kernelIS2_EES3_S5_EENS1_13Float8_e4m3fnEEEvPT1_PS4_PKfi
                                        ; -- End function
	.section	.AMDGPU.csdata,"",@progbits
; Kernel info:
; codeLenInByte = 13152
; NumSgprs: 37
; NumVgprs: 44
; ScratchSize: 0
; MemoryBound: 0
; FloatMode: 240
; IeeeMode: 1
; LDSByteSize: 0 bytes/workgroup (compile time only)
; SGPRBlocks: 4
; VGPRBlocks: 5
; NumSGPRsForWavesPerEU: 37
; NumVGPRsForWavesPerEU: 44
; Occupancy: 16
; WaveLimiterHint : 0
; COMPUTE_PGM_RSRC2:SCRATCH_EN: 0
; COMPUTE_PGM_RSRC2:USER_SGPR: 14
; COMPUTE_PGM_RSRC2:TRAP_HANDLER: 0
; COMPUTE_PGM_RSRC2:TGID_X_EN: 1
; COMPUTE_PGM_RSRC2:TGID_Y_EN: 1
; COMPUTE_PGM_RSRC2:TGID_Z_EN: 0
; COMPUTE_PGM_RSRC2:TIDIG_COMP_CNT: 0
	.section	.text._ZN4vllm24act_and_mul_quant_kernelIN3c108BFloat16ETnPFT_RKS3_EXadL_ZNS_11silu_kernelIS2_EES3_S5_EENS1_15Float8_e4m3fnuzEEEvPT1_PS4_PKfi,"axG",@progbits,_ZN4vllm24act_and_mul_quant_kernelIN3c108BFloat16ETnPFT_RKS3_EXadL_ZNS_11silu_kernelIS2_EES3_S5_EENS1_15Float8_e4m3fnuzEEEvPT1_PS4_PKfi,comdat
	.protected	_ZN4vllm24act_and_mul_quant_kernelIN3c108BFloat16ETnPFT_RKS3_EXadL_ZNS_11silu_kernelIS2_EES3_S5_EENS1_15Float8_e4m3fnuzEEEvPT1_PS4_PKfi ; -- Begin function _ZN4vllm24act_and_mul_quant_kernelIN3c108BFloat16ETnPFT_RKS3_EXadL_ZNS_11silu_kernelIS2_EES3_S5_EENS1_15Float8_e4m3fnuzEEEvPT1_PS4_PKfi
	.globl	_ZN4vllm24act_and_mul_quant_kernelIN3c108BFloat16ETnPFT_RKS3_EXadL_ZNS_11silu_kernelIS2_EES3_S5_EENS1_15Float8_e4m3fnuzEEEvPT1_PS4_PKfi
	.p2align	8
	.type	_ZN4vllm24act_and_mul_quant_kernelIN3c108BFloat16ETnPFT_RKS3_EXadL_ZNS_11silu_kernelIS2_EES3_S5_EENS1_15Float8_e4m3fnuzEEEvPT1_PS4_PKfi,@function
_ZN4vllm24act_and_mul_quant_kernelIN3c108BFloat16ETnPFT_RKS3_EXadL_ZNS_11silu_kernelIS2_EES3_S5_EENS1_15Float8_e4m3fnuzEEEvPT1_PS4_PKfi: ; @_ZN4vllm24act_and_mul_quant_kernelIN3c108BFloat16ETnPFT_RKS3_EXadL_ZNS_11silu_kernelIS2_EES3_S5_EENS1_15Float8_e4m3fnuzEEEvPT1_PS4_PKfi
; %bb.0:
	s_clause 0x1
	s_load_b32 s3, s[0:1], 0x24
	s_load_b32 s16, s[0:1], 0x18
	s_add_u32 s8, s0, 32
	s_addc_u32 s9, s1, 0
	s_mov_b32 s2, s15
	s_waitcnt lgkmcnt(0)
	s_abs_i32 s10, s3
	s_add_i32 s6, s16, s3
	v_cvt_f32_u32_e32 v1, s10
	s_sub_i32 s5, 0, s10
	s_add_i32 s11, s6, -1
	s_delay_alu instid0(SALU_CYCLE_1) | instskip(NEXT) | instid1(VALU_DEP_1)
	s_abs_i32 s12, s11
	v_rcp_iflag_f32_e32 v1, v1
	s_xor_b32 s3, s11, s3
	s_delay_alu instid0(SALU_CYCLE_1) | instskip(SKIP_2) | instid1(VALU_DEP_1)
	s_ashr_i32 s3, s3, 31
	s_waitcnt_depctr 0xfff
	v_mul_f32_e32 v1, 0x4f7ffffe, v1
	v_cvt_u32_f32_e32 v1, v1
	s_delay_alu instid0(VALU_DEP_1) | instskip(NEXT) | instid1(VALU_DEP_1)
	v_readfirstlane_b32 s4, v1
	s_mul_i32 s5, s5, s4
	s_delay_alu instid0(SALU_CYCLE_1) | instskip(NEXT) | instid1(SALU_CYCLE_1)
	s_mul_hi_u32 s5, s4, s5
	s_add_i32 s13, s4, s5
	s_load_b128 s[4:7], s[0:1], 0x0
	s_mul_hi_u32 s13, s12, s13
	s_delay_alu instid0(SALU_CYCLE_1) | instskip(NEXT) | instid1(SALU_CYCLE_1)
	s_mul_i32 s11, s13, s10
	s_sub_i32 s11, s12, s11
	s_add_i32 s12, s13, 1
	s_sub_i32 s15, s11, s10
	s_cmp_ge_u32 s11, s10
	s_cselect_b32 s12, s12, s13
	s_cselect_b32 s11, s15, s11
	s_add_i32 s13, s12, 1
	s_cmp_ge_u32 s11, s10
	s_mov_b32 s15, 0
	s_cselect_b32 s10, s13, s12
	s_delay_alu instid0(SALU_CYCLE_1) | instskip(NEXT) | instid1(SALU_CYCLE_1)
	s_xor_b32 s10, s10, s3
	s_sub_i32 s3, s10, s3
	s_delay_alu instid0(SALU_CYCLE_1) | instskip(NEXT) | instid1(SALU_CYCLE_1)
	s_and_b32 s10, s3, 7
	s_cmp_eq_u32 s10, 0
	s_cbranch_scc1 .LBB5_2
; %bb.1:
	s_ashr_i32 s10, s3, 31
	s_delay_alu instid0(SALU_CYCLE_1) | instskip(NEXT) | instid1(SALU_CYCLE_1)
	s_lshr_b32 s10, s10, 29
	s_add_i32 s3, s3, s10
	s_delay_alu instid0(SALU_CYCLE_1) | instskip(NEXT) | instid1(SALU_CYCLE_1)
	s_and_b32 s3, s3, -8
	s_add_i32 s3, s3, 8
.LBB5_2:
	s_load_b64 s[0:1], s[0:1], 0x10
	s_mul_i32 s10, s3, s2
	s_ashr_i32 s17, s16, 31
	s_add_i32 s2, s10, s3
	s_mul_hi_u32 s12, s16, s14
	s_min_i32 s2, s2, s16
	s_mul_i32 s13, s17, s14
	s_abs_i32 s3, s2
	s_mov_b32 s18, exec_lo
	v_cvt_f32_u32_e32 v1, s3
	s_sub_i32 s11, 0, s3
	s_delay_alu instid0(VALU_DEP_1) | instskip(SKIP_4) | instid1(VALU_DEP_1)
	v_rcp_iflag_f32_e32 v1, v1
	s_waitcnt lgkmcnt(0)
	s_load_b32 s1, s[0:1], 0x0
	s_waitcnt_depctr 0xfff
	v_mul_f32_e32 v1, 0x4f7ffffe, v1
	v_cvt_u32_f32_e32 v1, v1
	s_delay_alu instid0(VALU_DEP_1) | instskip(NEXT) | instid1(VALU_DEP_1)
	v_readfirstlane_b32 s0, v1
	s_mul_i32 s11, s11, s0
	s_waitcnt lgkmcnt(0)
	v_div_scale_f32 v2, null, s1, s1, 1.0
	s_mul_hi_u32 s11, s0, s11
	v_div_scale_f32 v4, vcc_lo, 1.0, s1, 1.0
	s_delay_alu instid0(VALU_DEP_2) | instskip(SKIP_3) | instid1(SALU_CYCLE_1)
	v_rcp_f32_e32 v1, v2
	s_add_i32 s0, s0, s11
	s_add_i32 s11, s12, s13
	s_lshr_b32 s0, s0, 29
	s_mul_i32 s0, s0, s3
	s_delay_alu instid0(SALU_CYCLE_1) | instskip(NEXT) | instid1(SALU_CYCLE_1)
	s_sub_i32 s0, 8, s0
	s_sub_i32 s12, s0, s3
	s_waitcnt_depctr 0xfff
	v_fma_f32 v3, -v2, v1, 1.0
	s_cmp_ge_u32 s0, s3
	s_cselect_b32 s0, s12, s0
	s_delay_alu instid0(SALU_CYCLE_1) | instskip(NEXT) | instid1(VALU_DEP_1)
	s_sub_i32 s12, s0, s3
	v_fmac_f32_e32 v1, v3, v1
	s_cmp_ge_u32 s0, s3
	s_cselect_b32 s3, s12, s0
	s_delay_alu instid0(VALU_DEP_1) | instskip(SKIP_3) | instid1(VALU_DEP_1)
	v_mul_f32_e32 v3, v4, v1
	s_cmp_eq_u32 s3, 0
	s_cselect_b32 s0, -1, 0
	s_ashr_i32 s12, s10, 31
	v_fma_f32 v5, -v2, v3, v4
	s_lshr_b32 s12, s12, 29
	v_cndmask_b32_e64 v18, 0, 1, s0
	s_add_i32 s10, s10, s12
	s_delay_alu instid0(VALU_DEP_2) | instskip(SKIP_3) | instid1(VALU_DEP_2)
	v_fmac_f32_e32 v3, v5, v1
	s_ashr_i32 s0, s10, 3
	s_mul_i32 s10, s16, s14
	v_add_nc_u32_e32 v19, s0, v0
	v_fma_f32 v2, -v2, v3, v4
	s_delay_alu instid0(VALU_DEP_1) | instskip(NEXT) | instid1(VALU_DEP_1)
	v_div_fmas_f32 v1, v2, v1, v3
	v_div_fixup_f32 v17, v1, s1, 1.0
	s_delay_alu instid0(VALU_DEP_4)
	v_cmpx_lt_i32_e64 v19, v18
	s_cbranch_execz .LBB5_85
; %bb.3:
	s_load_b32 s1, s[8:9], 0xc
	s_ashr_i32 s22, s0, 31
	v_add_co_u32 v1, s0, s0, v0
	s_delay_alu instid0(VALU_DEP_1)
	v_add_co_ci_u32_e64 v2, null, s22, 0, s0
	s_lshl_b64 s[20:21], s[14:15], 2
	s_lshl_b64 s[12:13], s[10:11], 2
	s_or_b32 s0, s20, 2
	s_mul_i32 s20, s21, s16
	s_mul_i32 s21, s0, s17
	s_mul_hi_u32 s22, s0, s16
	v_lshlrev_b64 v[3:4], 4, v[1:2]
	s_add_i32 s21, s22, s21
	v_lshlrev_b64 v[1:2], 3, v[1:2]
	s_add_i32 s20, s21, s20
	v_mov_b32_e32 v12, 0
	s_mov_b32 s19, 0
	v_add_co_u32 v20, vcc_lo, s6, v3
	s_waitcnt lgkmcnt(0)
	s_and_b32 s21, s1, 0xffff
	v_add_co_ci_u32_e32 v21, vcc_lo, s7, v4, vcc_lo
	s_lshl_b32 s22, s21, 4
	s_add_u32 s1, s4, s10
	s_addc_u32 s23, s5, s11
	v_add_co_u32 v9, vcc_lo, s1, v1
	v_add_co_ci_u32_e32 v10, vcc_lo, s23, v2, vcc_lo
	s_mul_i32 s23, s0, s16
	s_lshl_b32 s24, s21, 3
	s_mov_b32 s25, 0x43600000
	s_branch .LBB5_8
.LBB5_4:                                ;   in Loop: Header=BB5_8 Depth=1
	s_or_b32 exec_lo, exec_lo, s0
	s_delay_alu instid0(VALU_DEP_2) | instskip(NEXT) | instid1(VALU_DEP_2)
	v_lshrrev_b64 v[3:4], 20, v[3:4]
	v_cmp_gt_i32_e32 vcc_lo, 16, v8
	v_and_b32_e32 v7, 0x80, v7
	v_min_i32_e32 v11, 15, v8
	v_cmp_eq_u32_e64 s0, 0, v8
	v_dual_cndmask_b32 v4, 0, v4 :: v_dual_cndmask_b32 v3, 7, v3
	s_delay_alu instid0(VALU_DEP_3) | instskip(NEXT) | instid1(VALU_DEP_2)
	v_lshl_or_b32 v7, v11, 3, v7
	v_cmp_eq_u64_e32 vcc_lo, 0, v[3:4]
	s_delay_alu instid0(VALU_DEP_2)
	v_and_or_b32 v3, v3, 7, v7
	s_and_b32 s0, s0, vcc_lo
	s_delay_alu instid0(VALU_DEP_1) | instid1(SALU_CYCLE_1)
	v_cndmask_b32_e64 v3, v3, 0, s0
.LBB5_5:                                ;   in Loop: Header=BB5_8 Depth=1
	s_or_b32 exec_lo, exec_lo, s28
.LBB5_6:                                ;   in Loop: Header=BB5_8 Depth=1
	s_and_not1_saveexec_b32 s0, s27
	s_delay_alu instid0(SALU_CYCLE_1)
	s_or_b32 exec_lo, exec_lo, s0
.LBB5_7:                                ;   in Loop: Header=BB5_8 Depth=1
	s_and_not1_saveexec_b32 s0, s26
	s_delay_alu instid0(SALU_CYCLE_1)
	s_or_b32 exec_lo, exec_lo, s0
	v_lshlrev_b32_e32 v4, 16, v6
	v_lshlrev_b32_e32 v6, 16, v15
	;; [unrolled: 1-line block ×5, first 2 shown]
	v_and_b32_e32 v4, 0xff0000, v4
	v_perm_b32 v1, v1, v6, 0x4020c0c
	v_and_b32_e32 v5, 0xff, v5
	v_and_b32_e32 v6, 0xff, v13
	;; [unrolled: 1-line block ×3, first 2 shown]
	v_or_b32_e32 v3, v3, v4
	v_and_or_b32 v1, 0xff00, v7, v1
	v_add_nc_u32_e32 v19, s21, v19
	v_add_co_u32 v20, vcc_lo, v20, s22
	s_delay_alu instid0(VALU_DEP_4) | instskip(NEXT) | instid1(VALU_DEP_4)
	v_or3_b32 v2, v3, v2, v5
	v_or_b32_e32 v1, v1, v6
	v_add_co_ci_u32_e32 v21, vcc_lo, 0, v21, vcc_lo
	v_cmp_ge_i32_e32 vcc_lo, v19, v18
	global_store_b64 v[9:10], v[1:2], off
	v_add_co_u32 v9, s0, v9, s24
	s_delay_alu instid0(VALU_DEP_1) | instskip(SKIP_1) | instid1(SALU_CYCLE_1)
	v_add_co_ci_u32_e64 v10, s0, 0, v10, s0
	s_or_b32 s19, vcc_lo, s19
	s_and_not1_b32 exec_lo, exec_lo, s19
	s_cbranch_execz .LBB5_85
.LBB5_8:                                ; =>This Inner Loop Header: Depth=1
	v_add_co_u32 v1, vcc_lo, v20, s12
	v_add_co_ci_u32_e32 v2, vcc_lo, s13, v21, vcc_lo
	s_mov_b32 s0, exec_lo
	global_load_b128 v[5:8], v[1:2], off
	v_add_co_u32 v1, vcc_lo, v20, s23
	v_add_co_ci_u32_e32 v2, vcc_lo, s20, v21, vcc_lo
	global_load_b128 v[1:4], v[1:2], off
	s_waitcnt vmcnt(1)
	v_lshlrev_b32_e32 v11, 16, v5
	s_delay_alu instid0(VALU_DEP_1) | instskip(SKIP_1) | instid1(VALU_DEP_2)
	v_xor_b32_e32 v13, 0x80000000, v11
	v_cmp_o_f32_e32 vcc_lo, v11, v11
	v_bfe_u32 v14, v13, 16, 1
	s_delay_alu instid0(VALU_DEP_1) | instskip(NEXT) | instid1(VALU_DEP_1)
	v_add3_u32 v13, v13, v14, 0x7fff
	v_and_b32_e32 v13, 0xffff0000, v13
	s_delay_alu instid0(VALU_DEP_1) | instskip(NEXT) | instid1(VALU_DEP_1)
	v_cndmask_b32_e32 v13, 0x7fc00000, v13, vcc_lo
	v_mul_f32_e32 v14, 0x3fb8aa3b, v13
	v_cmp_ngt_f32_e32 vcc_lo, 0xc2ce8ed0, v13
	s_delay_alu instid0(VALU_DEP_2) | instskip(SKIP_1) | instid1(VALU_DEP_1)
	v_fma_f32 v15, 0x3fb8aa3b, v13, -v14
	v_rndne_f32_e32 v16, v14
	v_dual_fmac_f32 v15, 0x32a5705f, v13 :: v_dual_sub_f32 v14, v14, v16
	s_delay_alu instid0(VALU_DEP_1) | instskip(SKIP_1) | instid1(VALU_DEP_2)
	v_add_f32_e32 v14, v14, v15
	v_cvt_i32_f32_e32 v15, v16
	v_exp_f32_e32 v14, v14
	s_waitcnt_depctr 0xfff
	v_ldexp_f32 v14, v14, v15
	s_delay_alu instid0(VALU_DEP_1) | instskip(SKIP_1) | instid1(VALU_DEP_2)
	v_cndmask_b32_e32 v14, 0, v14, vcc_lo
	v_cmp_nlt_f32_e32 vcc_lo, 0x42b17218, v13
	v_cndmask_b32_e32 v13, 0x7f800000, v14, vcc_lo
	s_delay_alu instid0(VALU_DEP_1) | instskip(NEXT) | instid1(VALU_DEP_1)
	v_add_f32_e32 v13, 1.0, v13
	v_div_scale_f32 v14, null, v13, v13, v11
	v_div_scale_f32 v22, vcc_lo, v11, v13, v11
	s_delay_alu instid0(VALU_DEP_2) | instskip(SKIP_2) | instid1(VALU_DEP_1)
	v_rcp_f32_e32 v15, v14
	s_waitcnt_depctr 0xfff
	v_fma_f32 v16, -v14, v15, 1.0
	v_fmac_f32_e32 v15, v16, v15
	s_delay_alu instid0(VALU_DEP_1) | instskip(NEXT) | instid1(VALU_DEP_1)
	v_mul_f32_e32 v16, v22, v15
	v_fma_f32 v23, -v14, v16, v22
	s_delay_alu instid0(VALU_DEP_1) | instskip(NEXT) | instid1(VALU_DEP_1)
	v_fmac_f32_e32 v16, v23, v15
	v_fma_f32 v14, -v14, v16, v22
	s_delay_alu instid0(VALU_DEP_1) | instskip(NEXT) | instid1(VALU_DEP_1)
	v_div_fmas_f32 v14, v14, v15, v16
	v_div_fixup_f32 v11, v14, v13, v11
	s_delay_alu instid0(VALU_DEP_1) | instskip(SKIP_1) | instid1(VALU_DEP_2)
	v_bfe_u32 v13, v11, 16, 1
	v_cmp_o_f32_e32 vcc_lo, v11, v11
	v_add3_u32 v13, v11, v13, 0x7fff
	s_delay_alu instid0(VALU_DEP_1) | instskip(NEXT) | instid1(VALU_DEP_1)
	v_and_b32_e32 v13, 0xffff0000, v13
	v_cndmask_b32_e32 v11, 0x7fc00000, v13, vcc_lo
	s_waitcnt vmcnt(0)
	v_lshlrev_b32_e32 v13, 16, v1
	s_delay_alu instid0(VALU_DEP_1) | instskip(NEXT) | instid1(VALU_DEP_1)
	v_mul_f32_e32 v11, v11, v13
	v_bfe_u32 v13, v11, 16, 1
	v_cmp_o_f32_e32 vcc_lo, v11, v11
	s_delay_alu instid0(VALU_DEP_2) | instskip(NEXT) | instid1(VALU_DEP_1)
	v_add3_u32 v13, v11, v13, 0x7fff
	v_and_b32_e32 v13, 0xffff0000, v13
	s_delay_alu instid0(VALU_DEP_1) | instskip(NEXT) | instid1(VALU_DEP_1)
	v_cndmask_b32_e32 v11, 0x7fc00000, v13, vcc_lo
	v_mul_f32_e32 v11, v17, v11
	s_delay_alu instid0(VALU_DEP_1) | instskip(NEXT) | instid1(VALU_DEP_1)
	v_minmax_f32 v16, v11, s25, 0xc3600000
	v_lshrrev_b32_e32 v15, 24, v16
	v_and_b32_e32 v11, 0x7f800000, v16
	s_delay_alu instid0(VALU_DEP_2) | instskip(NEXT) | instid1(VALU_DEP_2)
	v_or_b32_e32 v13, 0x7f, v15
	v_cmpx_ne_u64_e32 0x7f800000, v[11:12]
	s_xor_b32 s26, exec_lo, s0
	s_cbranch_execz .LBB5_18
; %bb.9:                                ;   in Loop: Header=BB5_8 Depth=1
	v_and_b32_e32 v11, 0x7fffffff, v16
	s_mov_b32 s0, exec_lo
	s_delay_alu instid0(VALU_DEP_1)
	v_cmpx_gt_u64_e32 0x43700001, v[11:12]
	s_xor_b32 s27, exec_lo, s0
	s_cbranch_execz .LBB5_17
; %bb.10:                               ;   in Loop: Header=BB5_8 Depth=1
	s_mov_b32 s28, exec_lo
	v_mov_b32_e32 v13, 0
	v_mov_b32_e32 v14, 0
	v_cmpx_ne_u32_e32 0, v16
	s_cbranch_execz .LBB5_16
; %bb.11:                               ;   in Loop: Header=BB5_8 Depth=1
	v_bfe_u32 v22, v16, 23, 8
	v_and_b32_e32 v13, 0x7fffff, v16
	s_delay_alu instid0(VALU_DEP_2) | instskip(SKIP_2) | instid1(VALU_DEP_3)
	v_sub_nc_u32_e64 v11, 0x78, v22 clamp
	v_cmp_eq_u32_e32 vcc_lo, 0, v22
	v_add_nc_u32_e32 v22, 0xffffff89, v22
	v_cndmask_b32_e64 v16, v11, 0x77, vcc_lo
	v_or_b32_e32 v11, 0x800000, v13
	s_delay_alu instid0(VALU_DEP_1) | instskip(SKIP_1) | instid1(VALU_DEP_2)
	v_dual_cndmask_b32 v11, v11, v13 :: v_dual_add_nc_u32 v14, 20, v16
	v_add_nc_u32_e32 v25, 19, v16
	v_lshlrev_b64 v[13:14], v14, -1
	s_delay_alu instid0(VALU_DEP_3) | instskip(NEXT) | instid1(VALU_DEP_3)
	v_lshrrev_b64 v[23:24], v16, v[11:12]
	v_lshlrev_b64 v[25:26], v25, 1
	v_mov_b32_e32 v14, v12
	s_delay_alu instid0(VALU_DEP_4) | instskip(NEXT) | instid1(VALU_DEP_1)
	v_not_b32_e32 v13, v13
	v_and_b32_e32 v13, v11, v13
	v_and_b32_e32 v11, 0x100000, v23
	s_delay_alu instid0(VALU_DEP_2) | instskip(NEXT) | instid1(VALU_DEP_2)
	v_cmp_eq_u64_e64 s0, v[13:14], v[25:26]
	v_cmp_eq_u64_e64 s1, 0, v[11:12]
	v_cndmask_b32_e64 v11, v22, 0xffffff8a, vcc_lo
	v_lshrrev_b32_e32 v13, 23, v23
	s_delay_alu instid0(VALU_DEP_3) | instskip(NEXT) | instid1(VALU_DEP_1)
	s_and_b32 vcc_lo, s1, s0
	v_add3_u32 v16, v11, v16, v13
	v_subrev_co_ci_u32_e32 v14, vcc_lo, 0, v23, vcc_lo
	s_mov_b32 s0, exec_lo
	s_delay_alu instid0(VALU_DEP_2) | instskip(NEXT) | instid1(VALU_DEP_2)
	v_add_nc_u32_e32 v22, -1, v16
	v_and_b32_e32 v11, 0xfffff, v14
	s_delay_alu instid0(VALU_DEP_1) | instskip(SKIP_1) | instid1(VALU_DEP_4)
	v_add_co_u32 v13, vcc_lo, v11, v23
	v_add_co_ci_u32_e32 v14, vcc_lo, 0, v24, vcc_lo
                                        ; implicit-def: $vgpr11
	v_cmpx_ne_u32_e32 0, v22
	s_xor_b32 s0, exec_lo, s0
; %bb.12:                               ;   in Loop: Header=BB5_8 Depth=1
	s_delay_alu instid0(VALU_DEP_3) | instskip(SKIP_1) | instid1(VALU_DEP_2)
	v_and_b32_e32 v11, 0x1000000, v13
	v_bfe_u32 v23, v13, 24, 1
	v_cmp_eq_u64_e32 vcc_lo, 0, v[11:12]
	s_delay_alu instid0(VALU_DEP_2)
	v_lshrrev_b64 v[13:14], v23, v[13:14]
	v_cndmask_b32_e32 v11, v16, v22, vcc_lo
; %bb.13:                               ;   in Loop: Header=BB5_8 Depth=1
	s_and_not1_saveexec_b32 s0, s0
; %bb.14:                               ;   in Loop: Header=BB5_8 Depth=1
	s_delay_alu instid0(VALU_DEP_2)
	v_bfe_u32 v11, v13, 23, 1
; %bb.15:                               ;   in Loop: Header=BB5_8 Depth=1
	s_or_b32 exec_lo, exec_lo, s0
	s_delay_alu instid0(VALU_DEP_3) | instskip(NEXT) | instid1(VALU_DEP_2)
	v_lshrrev_b64 v[13:14], 20, v[13:14]
	v_cmp_gt_i32_e32 vcc_lo, 16, v11
	v_and_b32_e32 v15, 0x80, v15
	v_min_i32_e32 v16, 15, v11
	v_cmp_eq_u32_e64 s0, 0, v11
	v_dual_cndmask_b32 v14, 0, v14 :: v_dual_cndmask_b32 v13, 7, v13
	s_delay_alu instid0(VALU_DEP_3) | instskip(NEXT) | instid1(VALU_DEP_2)
	v_lshl_or_b32 v15, v16, 3, v15
	v_cmp_eq_u64_e32 vcc_lo, 0, v[13:14]
	s_delay_alu instid0(VALU_DEP_2)
	v_and_or_b32 v11, v13, 7, v15
	s_and_b32 s0, s0, vcc_lo
	s_delay_alu instid0(VALU_DEP_1) | instid1(SALU_CYCLE_1)
	v_cndmask_b32_e64 v13, v11, 0, s0
.LBB5_16:                               ;   in Loop: Header=BB5_8 Depth=1
	s_or_b32 exec_lo, exec_lo, s28
.LBB5_17:                               ;   in Loop: Header=BB5_8 Depth=1
	s_and_not1_saveexec_b32 s0, s27
	s_delay_alu instid0(SALU_CYCLE_1)
	s_or_b32 exec_lo, exec_lo, s0
.LBB5_18:                               ;   in Loop: Header=BB5_8 Depth=1
	s_and_not1_saveexec_b32 s0, s26
	s_delay_alu instid0(SALU_CYCLE_1) | instskip(SKIP_3) | instid1(VALU_DEP_2)
	s_or_b32 exec_lo, exec_lo, s0
	v_and_b32_e32 v5, 0xffff0000, v5
	v_and_b32_e32 v1, 0xffff0000, v1
	s_mov_b32 s0, exec_lo
	v_xor_b32_e32 v11, 0x80000000, v5
	v_cmp_o_f32_e32 vcc_lo, v5, v5
	s_delay_alu instid0(VALU_DEP_2) | instskip(NEXT) | instid1(VALU_DEP_1)
	v_bfe_u32 v14, v11, 16, 1
	v_add3_u32 v11, v11, v14, 0x7fff
	s_delay_alu instid0(VALU_DEP_1) | instskip(NEXT) | instid1(VALU_DEP_1)
	v_and_b32_e32 v11, 0xffff0000, v11
	v_cndmask_b32_e32 v11, 0x7fc00000, v11, vcc_lo
	s_delay_alu instid0(VALU_DEP_1) | instskip(SKIP_1) | instid1(VALU_DEP_2)
	v_mul_f32_e32 v14, 0x3fb8aa3b, v11
	v_cmp_ngt_f32_e32 vcc_lo, 0xc2ce8ed0, v11
	v_fma_f32 v15, 0x3fb8aa3b, v11, -v14
	v_rndne_f32_e32 v16, v14
	s_delay_alu instid0(VALU_DEP_1) | instskip(NEXT) | instid1(VALU_DEP_1)
	v_dual_fmac_f32 v15, 0x32a5705f, v11 :: v_dual_sub_f32 v14, v14, v16
	v_add_f32_e32 v14, v14, v15
	v_cvt_i32_f32_e32 v15, v16
	s_delay_alu instid0(VALU_DEP_2) | instskip(SKIP_2) | instid1(VALU_DEP_1)
	v_exp_f32_e32 v14, v14
	s_waitcnt_depctr 0xfff
	v_ldexp_f32 v14, v14, v15
	v_cndmask_b32_e32 v14, 0, v14, vcc_lo
	v_cmp_nlt_f32_e32 vcc_lo, 0x42b17218, v11
	s_delay_alu instid0(VALU_DEP_2) | instskip(NEXT) | instid1(VALU_DEP_1)
	v_cndmask_b32_e32 v11, 0x7f800000, v14, vcc_lo
	v_add_f32_e32 v11, 1.0, v11
	s_delay_alu instid0(VALU_DEP_1) | instskip(SKIP_1) | instid1(VALU_DEP_2)
	v_div_scale_f32 v14, null, v11, v11, v5
	v_div_scale_f32 v22, vcc_lo, v5, v11, v5
	v_rcp_f32_e32 v15, v14
	s_waitcnt_depctr 0xfff
	v_fma_f32 v16, -v14, v15, 1.0
	s_delay_alu instid0(VALU_DEP_1) | instskip(NEXT) | instid1(VALU_DEP_1)
	v_fmac_f32_e32 v15, v16, v15
	v_mul_f32_e32 v16, v22, v15
	s_delay_alu instid0(VALU_DEP_1) | instskip(NEXT) | instid1(VALU_DEP_1)
	v_fma_f32 v23, -v14, v16, v22
	v_fmac_f32_e32 v16, v23, v15
	s_delay_alu instid0(VALU_DEP_1) | instskip(NEXT) | instid1(VALU_DEP_1)
	v_fma_f32 v14, -v14, v16, v22
	v_div_fmas_f32 v14, v14, v15, v16
	s_delay_alu instid0(VALU_DEP_1) | instskip(NEXT) | instid1(VALU_DEP_1)
	v_div_fixup_f32 v5, v14, v11, v5
	v_bfe_u32 v11, v5, 16, 1
	v_cmp_o_f32_e32 vcc_lo, v5, v5
	s_delay_alu instid0(VALU_DEP_2) | instskip(NEXT) | instid1(VALU_DEP_1)
	v_add3_u32 v11, v5, v11, 0x7fff
	v_and_b32_e32 v11, 0xffff0000, v11
	s_delay_alu instid0(VALU_DEP_1) | instskip(NEXT) | instid1(VALU_DEP_1)
	v_cndmask_b32_e32 v5, 0x7fc00000, v11, vcc_lo
	v_mul_f32_e32 v1, v5, v1
	s_delay_alu instid0(VALU_DEP_1) | instskip(SKIP_1) | instid1(VALU_DEP_2)
	v_bfe_u32 v5, v1, 16, 1
	v_cmp_o_f32_e32 vcc_lo, v1, v1
	v_add3_u32 v5, v1, v5, 0x7fff
	s_delay_alu instid0(VALU_DEP_1) | instskip(NEXT) | instid1(VALU_DEP_1)
	v_and_b32_e32 v5, 0xffff0000, v5
	v_cndmask_b32_e32 v1, 0x7fc00000, v5, vcc_lo
	s_delay_alu instid0(VALU_DEP_1) | instskip(NEXT) | instid1(VALU_DEP_1)
	v_mul_f32_e32 v1, v17, v1
	v_minmax_f32 v5, v1, s25, 0xc3600000
	s_delay_alu instid0(VALU_DEP_1) | instskip(SKIP_1) | instid1(VALU_DEP_2)
	v_lshrrev_b32_e32 v1, 24, v5
	v_and_b32_e32 v11, 0x7f800000, v5
	v_or_b32_e32 v14, 0x7f, v1
	s_delay_alu instid0(VALU_DEP_2)
	v_cmpx_ne_u64_e32 0x7f800000, v[11:12]
	s_xor_b32 s26, exec_lo, s0
	s_cbranch_execz .LBB5_28
; %bb.19:                               ;   in Loop: Header=BB5_8 Depth=1
	v_and_b32_e32 v11, 0x7fffffff, v5
	s_mov_b32 s0, exec_lo
	s_delay_alu instid0(VALU_DEP_1)
	v_cmpx_gt_u64_e32 0x43700001, v[11:12]
	s_xor_b32 s27, exec_lo, s0
	s_cbranch_execz .LBB5_27
; %bb.20:                               ;   in Loop: Header=BB5_8 Depth=1
	s_mov_b32 s28, exec_lo
	v_mov_b32_e32 v14, 0
	v_mov_b32_e32 v15, 0
	v_cmpx_ne_u32_e32 0, v5
	s_cbranch_execz .LBB5_26
; %bb.21:                               ;   in Loop: Header=BB5_8 Depth=1
	v_bfe_u32 v16, v5, 23, 8
	v_and_b32_e32 v5, 0x7fffff, v5
	s_delay_alu instid0(VALU_DEP_2) | instskip(SKIP_1) | instid1(VALU_DEP_2)
	v_sub_nc_u32_e64 v11, 0x78, v16 clamp
	v_cmp_eq_u32_e32 vcc_lo, 0, v16
	v_cndmask_b32_e64 v22, v11, 0x77, vcc_lo
	s_delay_alu instid0(VALU_DEP_4) | instskip(NEXT) | instid1(VALU_DEP_1)
	v_or_b32_e32 v11, 0x800000, v5
	v_dual_cndmask_b32 v11, v11, v5 :: v_dual_add_nc_u32 v14, 20, v22
	v_add_nc_u32_e32 v5, 19, v22
	s_delay_alu instid0(VALU_DEP_2) | instskip(NEXT) | instid1(VALU_DEP_3)
	v_lshlrev_b64 v[14:15], v14, -1
	v_lshrrev_b64 v[23:24], v22, v[11:12]
	s_delay_alu instid0(VALU_DEP_3) | instskip(SKIP_1) | instid1(VALU_DEP_4)
	v_lshlrev_b64 v[25:26], v5, 1
	v_add_nc_u32_e32 v5, 0xffffff89, v16
	v_not_b32_e32 v14, v14
	v_mov_b32_e32 v15, v12
	s_delay_alu instid0(VALU_DEP_3) | instskip(NEXT) | instid1(VALU_DEP_3)
	v_cndmask_b32_e64 v5, v5, 0xffffff8a, vcc_lo
	v_and_b32_e32 v14, v11, v14
	v_and_b32_e32 v11, 0x100000, v23
	s_delay_alu instid0(VALU_DEP_2) | instskip(NEXT) | instid1(VALU_DEP_2)
	v_cmp_eq_u64_e64 s0, v[14:15], v[25:26]
	v_cmp_eq_u64_e64 s1, 0, v[11:12]
	v_lshrrev_b32_e32 v11, 23, v23
	s_delay_alu instid0(VALU_DEP_1) | instskip(NEXT) | instid1(VALU_DEP_3)
	v_add3_u32 v16, v5, v22, v11
	s_and_b32 vcc_lo, s1, s0
	s_mov_b32 s0, exec_lo
	v_subrev_co_ci_u32_e32 v14, vcc_lo, 0, v23, vcc_lo
	s_delay_alu instid0(VALU_DEP_2) | instskip(NEXT) | instid1(VALU_DEP_2)
	v_add_nc_u32_e32 v22, -1, v16
	v_and_b32_e32 v5, 0xfffff, v14
	s_delay_alu instid0(VALU_DEP_1) | instskip(SKIP_1) | instid1(VALU_DEP_4)
	v_add_co_u32 v14, vcc_lo, v5, v23
	v_add_co_ci_u32_e32 v15, vcc_lo, 0, v24, vcc_lo
                                        ; implicit-def: $vgpr5
	v_cmpx_ne_u32_e32 0, v22
	s_xor_b32 s0, exec_lo, s0
; %bb.22:                               ;   in Loop: Header=BB5_8 Depth=1
	s_delay_alu instid0(VALU_DEP_3) | instskip(SKIP_1) | instid1(VALU_DEP_2)
	v_and_b32_e32 v11, 0x1000000, v14
	v_bfe_u32 v5, v14, 24, 1
	v_cmp_eq_u64_e32 vcc_lo, 0, v[11:12]
	s_delay_alu instid0(VALU_DEP_2)
	v_lshrrev_b64 v[14:15], v5, v[14:15]
	v_cndmask_b32_e32 v5, v16, v22, vcc_lo
; %bb.23:                               ;   in Loop: Header=BB5_8 Depth=1
	s_and_not1_saveexec_b32 s0, s0
; %bb.24:                               ;   in Loop: Header=BB5_8 Depth=1
	s_delay_alu instid0(VALU_DEP_2)
	v_bfe_u32 v5, v14, 23, 1
; %bb.25:                               ;   in Loop: Header=BB5_8 Depth=1
	s_or_b32 exec_lo, exec_lo, s0
	s_delay_alu instid0(VALU_DEP_3) | instskip(NEXT) | instid1(VALU_DEP_2)
	v_lshrrev_b64 v[14:15], 20, v[14:15]
	v_cmp_gt_i32_e32 vcc_lo, 16, v5
	v_and_b32_e32 v1, 0x80, v1
	v_min_i32_e32 v11, 15, v5
	v_cmp_eq_u32_e64 s0, 0, v5
	v_dual_cndmask_b32 v14, 7, v14 :: v_dual_cndmask_b32 v15, 0, v15
	s_delay_alu instid0(VALU_DEP_3) | instskip(NEXT) | instid1(VALU_DEP_2)
	v_lshl_or_b32 v1, v11, 3, v1
	v_cmp_eq_u64_e32 vcc_lo, 0, v[14:15]
	s_delay_alu instid0(VALU_DEP_2)
	v_and_or_b32 v1, v14, 7, v1
	s_and_b32 s0, s0, vcc_lo
	s_delay_alu instid0(VALU_DEP_1) | instid1(SALU_CYCLE_1)
	v_cndmask_b32_e64 v14, v1, 0, s0
.LBB5_26:                               ;   in Loop: Header=BB5_8 Depth=1
	s_or_b32 exec_lo, exec_lo, s28
.LBB5_27:                               ;   in Loop: Header=BB5_8 Depth=1
	s_and_not1_saveexec_b32 s0, s27
	s_delay_alu instid0(SALU_CYCLE_1)
	s_or_b32 exec_lo, exec_lo, s0
.LBB5_28:                               ;   in Loop: Header=BB5_8 Depth=1
	s_and_not1_saveexec_b32 s0, s26
	s_delay_alu instid0(SALU_CYCLE_1) | instskip(SKIP_2) | instid1(VALU_DEP_1)
	s_or_b32 exec_lo, exec_lo, s0
	v_lshlrev_b32_e32 v1, 16, v6
	s_mov_b32 s0, exec_lo
	v_xor_b32_e32 v5, 0x80000000, v1
	v_cmp_o_f32_e32 vcc_lo, v1, v1
	s_delay_alu instid0(VALU_DEP_2) | instskip(NEXT) | instid1(VALU_DEP_1)
	v_bfe_u32 v11, v5, 16, 1
	v_add3_u32 v5, v5, v11, 0x7fff
	s_delay_alu instid0(VALU_DEP_1) | instskip(NEXT) | instid1(VALU_DEP_1)
	v_and_b32_e32 v5, 0xffff0000, v5
	v_cndmask_b32_e32 v5, 0x7fc00000, v5, vcc_lo
	s_delay_alu instid0(VALU_DEP_1) | instskip(SKIP_1) | instid1(VALU_DEP_2)
	v_mul_f32_e32 v11, 0x3fb8aa3b, v5
	v_cmp_ngt_f32_e32 vcc_lo, 0xc2ce8ed0, v5
	v_fma_f32 v15, 0x3fb8aa3b, v5, -v11
	v_rndne_f32_e32 v16, v11
	s_delay_alu instid0(VALU_DEP_2) | instskip(NEXT) | instid1(VALU_DEP_2)
	v_fmac_f32_e32 v15, 0x32a5705f, v5
	v_sub_f32_e32 v11, v11, v16
	s_delay_alu instid0(VALU_DEP_1) | instskip(SKIP_1) | instid1(VALU_DEP_2)
	v_add_f32_e32 v11, v11, v15
	v_cvt_i32_f32_e32 v15, v16
	v_exp_f32_e32 v11, v11
	s_waitcnt_depctr 0xfff
	v_ldexp_f32 v11, v11, v15
	s_delay_alu instid0(VALU_DEP_1) | instskip(SKIP_1) | instid1(VALU_DEP_2)
	v_cndmask_b32_e32 v11, 0, v11, vcc_lo
	v_cmp_nlt_f32_e32 vcc_lo, 0x42b17218, v5
	v_cndmask_b32_e32 v5, 0x7f800000, v11, vcc_lo
	s_delay_alu instid0(VALU_DEP_1) | instskip(NEXT) | instid1(VALU_DEP_1)
	v_add_f32_e32 v5, 1.0, v5
	v_div_scale_f32 v11, null, v5, v5, v1
	v_div_scale_f32 v22, vcc_lo, v1, v5, v1
	s_delay_alu instid0(VALU_DEP_2) | instskip(SKIP_2) | instid1(VALU_DEP_1)
	v_rcp_f32_e32 v15, v11
	s_waitcnt_depctr 0xfff
	v_fma_f32 v16, -v11, v15, 1.0
	v_fmac_f32_e32 v15, v16, v15
	s_delay_alu instid0(VALU_DEP_1) | instskip(NEXT) | instid1(VALU_DEP_1)
	v_mul_f32_e32 v16, v22, v15
	v_fma_f32 v23, -v11, v16, v22
	s_delay_alu instid0(VALU_DEP_1) | instskip(NEXT) | instid1(VALU_DEP_1)
	v_fmac_f32_e32 v16, v23, v15
	v_fma_f32 v11, -v11, v16, v22
	s_delay_alu instid0(VALU_DEP_1) | instskip(NEXT) | instid1(VALU_DEP_1)
	v_div_fmas_f32 v11, v11, v15, v16
	v_div_fixup_f32 v1, v11, v5, v1
	s_delay_alu instid0(VALU_DEP_1) | instskip(SKIP_1) | instid1(VALU_DEP_2)
	v_bfe_u32 v5, v1, 16, 1
	v_cmp_o_f32_e32 vcc_lo, v1, v1
	v_add3_u32 v5, v1, v5, 0x7fff
	s_delay_alu instid0(VALU_DEP_1) | instskip(NEXT) | instid1(VALU_DEP_1)
	v_and_b32_e32 v5, 0xffff0000, v5
	v_cndmask_b32_e32 v1, 0x7fc00000, v5, vcc_lo
	v_lshlrev_b32_e32 v5, 16, v2
	s_delay_alu instid0(VALU_DEP_1) | instskip(NEXT) | instid1(VALU_DEP_1)
	v_mul_f32_e32 v1, v1, v5
	v_bfe_u32 v5, v1, 16, 1
	v_cmp_o_f32_e32 vcc_lo, v1, v1
	s_delay_alu instid0(VALU_DEP_2) | instskip(NEXT) | instid1(VALU_DEP_1)
	v_add3_u32 v5, v1, v5, 0x7fff
	v_and_b32_e32 v5, 0xffff0000, v5
	s_delay_alu instid0(VALU_DEP_1) | instskip(NEXT) | instid1(VALU_DEP_1)
	v_cndmask_b32_e32 v1, 0x7fc00000, v5, vcc_lo
	v_mul_f32_e32 v1, v17, v1
	s_delay_alu instid0(VALU_DEP_1) | instskip(NEXT) | instid1(VALU_DEP_1)
	v_minmax_f32 v5, v1, s25, 0xc3600000
	v_lshrrev_b32_e32 v1, 24, v5
	v_and_b32_e32 v11, 0x7f800000, v5
	s_delay_alu instid0(VALU_DEP_2) | instskip(NEXT) | instid1(VALU_DEP_2)
	v_or_b32_e32 v15, 0x7f, v1
	v_cmpx_ne_u64_e32 0x7f800000, v[11:12]
	s_xor_b32 s26, exec_lo, s0
	s_cbranch_execz .LBB5_38
; %bb.29:                               ;   in Loop: Header=BB5_8 Depth=1
	v_and_b32_e32 v11, 0x7fffffff, v5
	s_mov_b32 s0, exec_lo
	s_delay_alu instid0(VALU_DEP_1)
	v_cmpx_gt_u64_e32 0x43700001, v[11:12]
	s_xor_b32 s27, exec_lo, s0
	s_cbranch_execz .LBB5_37
; %bb.30:                               ;   in Loop: Header=BB5_8 Depth=1
	s_mov_b32 s28, exec_lo
	v_mov_b32_e32 v15, 0
	v_mov_b32_e32 v16, 0
	v_cmpx_ne_u32_e32 0, v5
	s_cbranch_execz .LBB5_36
; %bb.31:                               ;   in Loop: Header=BB5_8 Depth=1
	v_bfe_u32 v26, v5, 23, 8
	v_and_b32_e32 v5, 0x7fffff, v5
	s_delay_alu instid0(VALU_DEP_2) | instskip(SKIP_1) | instid1(VALU_DEP_2)
	v_sub_nc_u32_e64 v11, 0x78, v26 clamp
	v_cmp_eq_u32_e32 vcc_lo, 0, v26
	v_cndmask_b32_e64 v27, v11, 0x77, vcc_lo
	s_delay_alu instid0(VALU_DEP_1) | instskip(NEXT) | instid1(VALU_DEP_1)
	v_add_nc_u32_e32 v15, 20, v27
	v_lshlrev_b64 v[15:16], v15, -1
	v_mov_b32_e32 v16, v12
	v_or_b32_e32 v11, 0x800000, v5
	s_delay_alu instid0(VALU_DEP_3) | instskip(NEXT) | instid1(VALU_DEP_2)
	v_not_b32_e32 v15, v15
	v_cndmask_b32_e32 v11, v11, v5, vcc_lo
	v_add_nc_u32_e32 v5, 19, v27
	s_delay_alu instid0(VALU_DEP_2) | instskip(NEXT) | instid1(VALU_DEP_2)
	v_lshrrev_b64 v[24:25], v27, v[11:12]
	v_lshlrev_b64 v[22:23], v5, 1
	v_and_b32_e32 v15, v11, v15
	v_add_nc_u32_e32 v5, 0xffffff89, v26
	s_delay_alu instid0(VALU_DEP_4) | instskip(NEXT) | instid1(VALU_DEP_3)
	v_and_b32_e32 v11, 0x100000, v24
	v_cmp_eq_u64_e64 s0, v[15:16], v[22:23]
	s_delay_alu instid0(VALU_DEP_3) | instskip(NEXT) | instid1(VALU_DEP_3)
	v_cndmask_b32_e64 v5, v5, 0xffffff8a, vcc_lo
	v_cmp_eq_u64_e64 s1, 0, v[11:12]
	v_lshrrev_b32_e32 v11, 23, v24
	s_delay_alu instid0(VALU_DEP_1) | instskip(NEXT) | instid1(VALU_DEP_3)
	v_add3_u32 v22, v5, v27, v11
	s_and_b32 vcc_lo, s1, s0
	s_mov_b32 s0, exec_lo
	v_subrev_co_ci_u32_e32 v15, vcc_lo, 0, v24, vcc_lo
	s_delay_alu instid0(VALU_DEP_2) | instskip(NEXT) | instid1(VALU_DEP_2)
	v_add_nc_u32_e32 v23, -1, v22
	v_and_b32_e32 v5, 0xfffff, v15
	s_delay_alu instid0(VALU_DEP_1) | instskip(SKIP_1) | instid1(VALU_DEP_4)
	v_add_co_u32 v15, vcc_lo, v5, v24
	v_add_co_ci_u32_e32 v16, vcc_lo, 0, v25, vcc_lo
                                        ; implicit-def: $vgpr5
	v_cmpx_ne_u32_e32 0, v23
	s_xor_b32 s0, exec_lo, s0
; %bb.32:                               ;   in Loop: Header=BB5_8 Depth=1
	s_delay_alu instid0(VALU_DEP_3) | instskip(SKIP_1) | instid1(VALU_DEP_2)
	v_and_b32_e32 v11, 0x1000000, v15
	v_bfe_u32 v5, v15, 24, 1
	v_cmp_eq_u64_e32 vcc_lo, 0, v[11:12]
	s_delay_alu instid0(VALU_DEP_2)
	v_lshrrev_b64 v[15:16], v5, v[15:16]
	v_cndmask_b32_e32 v5, v22, v23, vcc_lo
; %bb.33:                               ;   in Loop: Header=BB5_8 Depth=1
	s_and_not1_saveexec_b32 s0, s0
; %bb.34:                               ;   in Loop: Header=BB5_8 Depth=1
	s_delay_alu instid0(VALU_DEP_2)
	v_bfe_u32 v5, v15, 23, 1
; %bb.35:                               ;   in Loop: Header=BB5_8 Depth=1
	s_or_b32 exec_lo, exec_lo, s0
	s_delay_alu instid0(VALU_DEP_3) | instskip(NEXT) | instid1(VALU_DEP_2)
	v_lshrrev_b64 v[15:16], 20, v[15:16]
	v_cmp_gt_i32_e32 vcc_lo, 16, v5
	v_and_b32_e32 v1, 0x80, v1
	v_min_i32_e32 v11, 15, v5
	v_cmp_eq_u32_e64 s0, 0, v5
	v_dual_cndmask_b32 v16, 0, v16 :: v_dual_cndmask_b32 v15, 7, v15
	s_delay_alu instid0(VALU_DEP_3) | instskip(NEXT) | instid1(VALU_DEP_2)
	v_lshl_or_b32 v1, v11, 3, v1
	v_cmp_eq_u64_e32 vcc_lo, 0, v[15:16]
	s_delay_alu instid0(VALU_DEP_2)
	v_and_or_b32 v1, v15, 7, v1
	s_and_b32 s0, s0, vcc_lo
	s_delay_alu instid0(VALU_DEP_1) | instid1(SALU_CYCLE_1)
	v_cndmask_b32_e64 v15, v1, 0, s0
.LBB5_36:                               ;   in Loop: Header=BB5_8 Depth=1
	s_or_b32 exec_lo, exec_lo, s28
.LBB5_37:                               ;   in Loop: Header=BB5_8 Depth=1
	s_and_not1_saveexec_b32 s0, s27
	s_delay_alu instid0(SALU_CYCLE_1)
	s_or_b32 exec_lo, exec_lo, s0
.LBB5_38:                               ;   in Loop: Header=BB5_8 Depth=1
	s_and_not1_saveexec_b32 s0, s26
	s_delay_alu instid0(SALU_CYCLE_1) | instskip(SKIP_3) | instid1(VALU_DEP_2)
	s_or_b32 exec_lo, exec_lo, s0
	v_and_b32_e32 v1, 0xffff0000, v6
	s_mov_b32 s0, exec_lo
	v_and_b32_e32 v2, 0xffff0000, v2
	v_xor_b32_e32 v5, 0x80000000, v1
	v_cmp_o_f32_e32 vcc_lo, v1, v1
	s_delay_alu instid0(VALU_DEP_2) | instskip(NEXT) | instid1(VALU_DEP_1)
	v_bfe_u32 v6, v5, 16, 1
	v_add3_u32 v5, v5, v6, 0x7fff
	s_delay_alu instid0(VALU_DEP_1) | instskip(NEXT) | instid1(VALU_DEP_1)
	v_and_b32_e32 v5, 0xffff0000, v5
	v_cndmask_b32_e32 v5, 0x7fc00000, v5, vcc_lo
	s_delay_alu instid0(VALU_DEP_1) | instskip(SKIP_1) | instid1(VALU_DEP_2)
	v_mul_f32_e32 v6, 0x3fb8aa3b, v5
	v_cmp_ngt_f32_e32 vcc_lo, 0xc2ce8ed0, v5
	v_fma_f32 v11, 0x3fb8aa3b, v5, -v6
	v_rndne_f32_e32 v16, v6
	s_delay_alu instid0(VALU_DEP_1) | instskip(NEXT) | instid1(VALU_DEP_1)
	v_dual_fmac_f32 v11, 0x32a5705f, v5 :: v_dual_sub_f32 v6, v6, v16
	v_add_f32_e32 v6, v6, v11
	v_cvt_i32_f32_e32 v11, v16
	s_delay_alu instid0(VALU_DEP_2) | instskip(SKIP_2) | instid1(VALU_DEP_1)
	v_exp_f32_e32 v6, v6
	s_waitcnt_depctr 0xfff
	v_ldexp_f32 v6, v6, v11
	v_cndmask_b32_e32 v6, 0, v6, vcc_lo
	v_cmp_nlt_f32_e32 vcc_lo, 0x42b17218, v5
	s_delay_alu instid0(VALU_DEP_2) | instskip(NEXT) | instid1(VALU_DEP_1)
	v_cndmask_b32_e32 v5, 0x7f800000, v6, vcc_lo
	v_add_f32_e32 v5, 1.0, v5
	s_delay_alu instid0(VALU_DEP_1) | instskip(SKIP_1) | instid1(VALU_DEP_2)
	v_div_scale_f32 v6, null, v5, v5, v1
	v_div_scale_f32 v22, vcc_lo, v1, v5, v1
	v_rcp_f32_e32 v11, v6
	s_waitcnt_depctr 0xfff
	v_fma_f32 v16, -v6, v11, 1.0
	s_delay_alu instid0(VALU_DEP_1) | instskip(NEXT) | instid1(VALU_DEP_1)
	v_fmac_f32_e32 v11, v16, v11
	v_mul_f32_e32 v16, v22, v11
	s_delay_alu instid0(VALU_DEP_1) | instskip(NEXT) | instid1(VALU_DEP_1)
	v_fma_f32 v23, -v6, v16, v22
	v_fmac_f32_e32 v16, v23, v11
	s_delay_alu instid0(VALU_DEP_1) | instskip(NEXT) | instid1(VALU_DEP_1)
	v_fma_f32 v6, -v6, v16, v22
	v_div_fmas_f32 v6, v6, v11, v16
	s_delay_alu instid0(VALU_DEP_1) | instskip(NEXT) | instid1(VALU_DEP_1)
	v_div_fixup_f32 v1, v6, v5, v1
	v_bfe_u32 v5, v1, 16, 1
	v_cmp_o_f32_e32 vcc_lo, v1, v1
	s_delay_alu instid0(VALU_DEP_2) | instskip(NEXT) | instid1(VALU_DEP_1)
	v_add3_u32 v5, v1, v5, 0x7fff
	v_and_b32_e32 v5, 0xffff0000, v5
	s_delay_alu instid0(VALU_DEP_1) | instskip(NEXT) | instid1(VALU_DEP_1)
	v_cndmask_b32_e32 v1, 0x7fc00000, v5, vcc_lo
	v_mul_f32_e32 v1, v1, v2
	s_delay_alu instid0(VALU_DEP_1) | instskip(SKIP_1) | instid1(VALU_DEP_2)
	v_bfe_u32 v2, v1, 16, 1
	v_cmp_o_f32_e32 vcc_lo, v1, v1
	v_add3_u32 v2, v1, v2, 0x7fff
	s_delay_alu instid0(VALU_DEP_1) | instskip(NEXT) | instid1(VALU_DEP_1)
	v_and_b32_e32 v2, 0xffff0000, v2
	v_cndmask_b32_e32 v1, 0x7fc00000, v2, vcc_lo
	s_delay_alu instid0(VALU_DEP_1) | instskip(NEXT) | instid1(VALU_DEP_1)
	v_mul_f32_e32 v1, v17, v1
	v_minmax_f32 v6, v1, s25, 0xc3600000
	s_delay_alu instid0(VALU_DEP_1) | instskip(SKIP_1) | instid1(VALU_DEP_2)
	v_lshrrev_b32_e32 v5, 24, v6
	v_and_b32_e32 v11, 0x7f800000, v6
	v_or_b32_e32 v1, 0x7f, v5
	s_delay_alu instid0(VALU_DEP_2)
	v_cmpx_ne_u64_e32 0x7f800000, v[11:12]
	s_xor_b32 s26, exec_lo, s0
	s_cbranch_execz .LBB5_48
; %bb.39:                               ;   in Loop: Header=BB5_8 Depth=1
	v_and_b32_e32 v11, 0x7fffffff, v6
	s_mov_b32 s0, exec_lo
	s_delay_alu instid0(VALU_DEP_1)
	v_cmpx_gt_u64_e32 0x43700001, v[11:12]
	s_xor_b32 s27, exec_lo, s0
	s_cbranch_execz .LBB5_47
; %bb.40:                               ;   in Loop: Header=BB5_8 Depth=1
	s_mov_b32 s28, exec_lo
	v_mov_b32_e32 v1, 0
	v_mov_b32_e32 v2, 0
	v_cmpx_ne_u32_e32 0, v6
	s_cbranch_execz .LBB5_46
; %bb.41:                               ;   in Loop: Header=BB5_8 Depth=1
	v_bfe_u32 v16, v6, 23, 8
	v_and_b32_e32 v2, 0x7fffff, v6
	s_delay_alu instid0(VALU_DEP_2) | instskip(SKIP_2) | instid1(VALU_DEP_3)
	v_sub_nc_u32_e64 v1, 0x78, v16 clamp
	v_cmp_eq_u32_e32 vcc_lo, 0, v16
	v_add_nc_u32_e32 v16, 0xffffff89, v16
	v_cndmask_b32_e64 v6, v1, 0x77, vcc_lo
	v_or_b32_e32 v1, 0x800000, v2
	s_delay_alu instid0(VALU_DEP_2) | instskip(NEXT) | instid1(VALU_DEP_2)
	v_add_nc_u32_e32 v22, 20, v6
	v_cndmask_b32_e32 v11, v1, v2, vcc_lo
	s_delay_alu instid0(VALU_DEP_2) | instskip(SKIP_2) | instid1(VALU_DEP_4)
	v_lshlrev_b64 v[1:2], v22, -1
	v_mov_b32_e32 v2, v12
	v_add_nc_u32_e32 v22, 19, v6
	v_lshrrev_b64 v[23:24], v6, v[11:12]
	s_delay_alu instid0(VALU_DEP_4) | instskip(NEXT) | instid1(VALU_DEP_3)
	v_not_b32_e32 v1, v1
	v_lshlrev_b64 v[25:26], v22, 1
	s_delay_alu instid0(VALU_DEP_2) | instskip(NEXT) | instid1(VALU_DEP_4)
	v_and_b32_e32 v1, v11, v1
	v_and_b32_e32 v11, 0x100000, v23
	s_delay_alu instid0(VALU_DEP_2) | instskip(NEXT) | instid1(VALU_DEP_2)
	v_cmp_eq_u64_e64 s0, v[1:2], v[25:26]
	v_cmp_eq_u64_e64 s1, 0, v[11:12]
	v_cndmask_b32_e64 v1, v16, 0xffffff8a, vcc_lo
	v_lshrrev_b32_e32 v2, 23, v23
	s_delay_alu instid0(VALU_DEP_3) | instskip(NEXT) | instid1(VALU_DEP_1)
	s_and_b32 vcc_lo, s1, s0
	v_add3_u32 v16, v1, v6, v2
	v_subrev_co_ci_u32_e32 v11, vcc_lo, 0, v23, vcc_lo
	s_mov_b32 s0, exec_lo
                                        ; implicit-def: $vgpr6
	s_delay_alu instid0(VALU_DEP_2) | instskip(NEXT) | instid1(VALU_DEP_2)
	v_add_nc_u32_e32 v22, -1, v16
	v_and_b32_e32 v1, 0xfffff, v11
	s_delay_alu instid0(VALU_DEP_1) | instskip(SKIP_1) | instid1(VALU_DEP_4)
	v_add_co_u32 v1, vcc_lo, v1, v23
	v_add_co_ci_u32_e32 v2, vcc_lo, 0, v24, vcc_lo
	v_cmpx_ne_u32_e32 0, v22
	s_xor_b32 s0, exec_lo, s0
; %bb.42:                               ;   in Loop: Header=BB5_8 Depth=1
	s_delay_alu instid0(VALU_DEP_3) | instskip(SKIP_1) | instid1(VALU_DEP_2)
	v_and_b32_e32 v11, 0x1000000, v1
	v_bfe_u32 v6, v1, 24, 1
	v_cmp_eq_u64_e32 vcc_lo, 0, v[11:12]
	s_delay_alu instid0(VALU_DEP_2)
	v_lshrrev_b64 v[1:2], v6, v[1:2]
	v_cndmask_b32_e32 v6, v16, v22, vcc_lo
; %bb.43:                               ;   in Loop: Header=BB5_8 Depth=1
	s_and_not1_saveexec_b32 s0, s0
; %bb.44:                               ;   in Loop: Header=BB5_8 Depth=1
	s_delay_alu instid0(VALU_DEP_2)
	v_bfe_u32 v6, v1, 23, 1
; %bb.45:                               ;   in Loop: Header=BB5_8 Depth=1
	s_or_b32 exec_lo, exec_lo, s0
	s_delay_alu instid0(VALU_DEP_3) | instskip(NEXT) | instid1(VALU_DEP_2)
	v_lshrrev_b64 v[1:2], 20, v[1:2]
	v_cmp_gt_i32_e32 vcc_lo, 16, v6
	v_and_b32_e32 v5, 0x80, v5
	v_min_i32_e32 v11, 15, v6
	v_cmp_eq_u32_e64 s0, 0, v6
	v_dual_cndmask_b32 v2, 0, v2 :: v_dual_cndmask_b32 v1, 7, v1
	s_delay_alu instid0(VALU_DEP_3) | instskip(NEXT) | instid1(VALU_DEP_2)
	v_lshl_or_b32 v5, v11, 3, v5
	v_cmp_eq_u64_e32 vcc_lo, 0, v[1:2]
	s_delay_alu instid0(VALU_DEP_2)
	v_and_or_b32 v1, v1, 7, v5
	s_and_b32 s0, s0, vcc_lo
	s_delay_alu instid0(VALU_DEP_1) | instid1(SALU_CYCLE_1)
	v_cndmask_b32_e64 v1, v1, 0, s0
.LBB5_46:                               ;   in Loop: Header=BB5_8 Depth=1
	s_or_b32 exec_lo, exec_lo, s28
.LBB5_47:                               ;   in Loop: Header=BB5_8 Depth=1
	s_and_not1_saveexec_b32 s0, s27
	s_delay_alu instid0(SALU_CYCLE_1)
	s_or_b32 exec_lo, exec_lo, s0
.LBB5_48:                               ;   in Loop: Header=BB5_8 Depth=1
	s_and_not1_saveexec_b32 s0, s26
	s_delay_alu instid0(SALU_CYCLE_1) | instskip(SKIP_2) | instid1(VALU_DEP_1)
	s_or_b32 exec_lo, exec_lo, s0
	v_lshlrev_b32_e32 v2, 16, v7
	s_mov_b32 s0, exec_lo
	v_xor_b32_e32 v5, 0x80000000, v2
	v_cmp_o_f32_e32 vcc_lo, v2, v2
	s_delay_alu instid0(VALU_DEP_2) | instskip(NEXT) | instid1(VALU_DEP_1)
	v_bfe_u32 v6, v5, 16, 1
	v_add3_u32 v5, v5, v6, 0x7fff
	s_delay_alu instid0(VALU_DEP_1) | instskip(NEXT) | instid1(VALU_DEP_1)
	v_and_b32_e32 v5, 0xffff0000, v5
	v_cndmask_b32_e32 v5, 0x7fc00000, v5, vcc_lo
	s_delay_alu instid0(VALU_DEP_1) | instskip(SKIP_1) | instid1(VALU_DEP_2)
	v_mul_f32_e32 v6, 0x3fb8aa3b, v5
	v_cmp_ngt_f32_e32 vcc_lo, 0xc2ce8ed0, v5
	v_fma_f32 v11, 0x3fb8aa3b, v5, -v6
	v_rndne_f32_e32 v16, v6
	s_delay_alu instid0(VALU_DEP_1) | instskip(NEXT) | instid1(VALU_DEP_1)
	v_dual_fmac_f32 v11, 0x32a5705f, v5 :: v_dual_sub_f32 v6, v6, v16
	v_add_f32_e32 v6, v6, v11
	v_cvt_i32_f32_e32 v11, v16
	s_delay_alu instid0(VALU_DEP_2) | instskip(SKIP_2) | instid1(VALU_DEP_1)
	v_exp_f32_e32 v6, v6
	s_waitcnt_depctr 0xfff
	v_ldexp_f32 v6, v6, v11
	v_cndmask_b32_e32 v6, 0, v6, vcc_lo
	v_cmp_nlt_f32_e32 vcc_lo, 0x42b17218, v5
	s_delay_alu instid0(VALU_DEP_2) | instskip(NEXT) | instid1(VALU_DEP_1)
	v_cndmask_b32_e32 v5, 0x7f800000, v6, vcc_lo
	v_add_f32_e32 v5, 1.0, v5
	s_delay_alu instid0(VALU_DEP_1) | instskip(SKIP_1) | instid1(VALU_DEP_2)
	v_div_scale_f32 v6, null, v5, v5, v2
	v_div_scale_f32 v22, vcc_lo, v2, v5, v2
	v_rcp_f32_e32 v11, v6
	s_waitcnt_depctr 0xfff
	v_fma_f32 v16, -v6, v11, 1.0
	s_delay_alu instid0(VALU_DEP_1) | instskip(NEXT) | instid1(VALU_DEP_1)
	v_fmac_f32_e32 v11, v16, v11
	v_mul_f32_e32 v16, v22, v11
	s_delay_alu instid0(VALU_DEP_1) | instskip(NEXT) | instid1(VALU_DEP_1)
	v_fma_f32 v23, -v6, v16, v22
	v_fmac_f32_e32 v16, v23, v11
	s_delay_alu instid0(VALU_DEP_1) | instskip(NEXT) | instid1(VALU_DEP_1)
	v_fma_f32 v6, -v6, v16, v22
	v_div_fmas_f32 v6, v6, v11, v16
	s_delay_alu instid0(VALU_DEP_1) | instskip(NEXT) | instid1(VALU_DEP_1)
	v_div_fixup_f32 v2, v6, v5, v2
	v_bfe_u32 v5, v2, 16, 1
	v_cmp_o_f32_e32 vcc_lo, v2, v2
	s_delay_alu instid0(VALU_DEP_2) | instskip(NEXT) | instid1(VALU_DEP_1)
	v_add3_u32 v5, v2, v5, 0x7fff
	v_and_b32_e32 v5, 0xffff0000, v5
	s_delay_alu instid0(VALU_DEP_1) | instskip(NEXT) | instid1(VALU_DEP_1)
	v_dual_cndmask_b32 v2, 0x7fc00000, v5 :: v_dual_lshlrev_b32 v5, 16, v3
	v_mul_f32_e32 v2, v2, v5
	s_delay_alu instid0(VALU_DEP_1) | instskip(SKIP_1) | instid1(VALU_DEP_2)
	v_bfe_u32 v5, v2, 16, 1
	v_cmp_o_f32_e32 vcc_lo, v2, v2
	v_add3_u32 v5, v2, v5, 0x7fff
	s_delay_alu instid0(VALU_DEP_1) | instskip(NEXT) | instid1(VALU_DEP_1)
	v_and_b32_e32 v5, 0xffff0000, v5
	v_cndmask_b32_e32 v2, 0x7fc00000, v5, vcc_lo
	s_delay_alu instid0(VALU_DEP_1) | instskip(NEXT) | instid1(VALU_DEP_1)
	v_mul_f32_e32 v2, v17, v2
	v_minmax_f32 v16, v2, s25, 0xc3600000
	s_delay_alu instid0(VALU_DEP_1) | instskip(SKIP_1) | instid1(VALU_DEP_2)
	v_lshrrev_b32_e32 v2, 24, v16
	v_and_b32_e32 v11, 0x7f800000, v16
	v_or_b32_e32 v5, 0x7f, v2
	s_delay_alu instid0(VALU_DEP_2)
	v_cmpx_ne_u64_e32 0x7f800000, v[11:12]
	s_xor_b32 s26, exec_lo, s0
	s_cbranch_execz .LBB5_58
; %bb.49:                               ;   in Loop: Header=BB5_8 Depth=1
	v_and_b32_e32 v11, 0x7fffffff, v16
	s_mov_b32 s0, exec_lo
	s_delay_alu instid0(VALU_DEP_1)
	v_cmpx_gt_u64_e32 0x43700001, v[11:12]
	s_xor_b32 s27, exec_lo, s0
	s_cbranch_execz .LBB5_57
; %bb.50:                               ;   in Loop: Header=BB5_8 Depth=1
	s_mov_b32 s28, exec_lo
	v_mov_b32_e32 v5, 0
	v_mov_b32_e32 v6, 0
	v_cmpx_ne_u32_e32 0, v16
	s_cbranch_execz .LBB5_56
; %bb.51:                               ;   in Loop: Header=BB5_8 Depth=1
	v_bfe_u32 v22, v16, 23, 8
	v_and_b32_e32 v6, 0x7fffff, v16
	s_delay_alu instid0(VALU_DEP_2) | instskip(SKIP_2) | instid1(VALU_DEP_3)
	v_sub_nc_u32_e64 v5, 0x78, v22 clamp
	v_cmp_eq_u32_e32 vcc_lo, 0, v22
	v_add_nc_u32_e32 v22, 0xffffff89, v22
	v_cndmask_b32_e64 v16, v5, 0x77, vcc_lo
	v_or_b32_e32 v5, 0x800000, v6
	s_delay_alu instid0(VALU_DEP_2) | instskip(NEXT) | instid1(VALU_DEP_2)
	v_add_nc_u32_e32 v23, 20, v16
	v_cndmask_b32_e32 v11, v5, v6, vcc_lo
	v_add_nc_u32_e32 v25, 19, v16
	s_delay_alu instid0(VALU_DEP_3) | instskip(NEXT) | instid1(VALU_DEP_3)
	v_lshlrev_b64 v[5:6], v23, -1
	v_lshrrev_b64 v[23:24], v16, v[11:12]
	s_delay_alu instid0(VALU_DEP_3) | instskip(SKIP_1) | instid1(VALU_DEP_4)
	v_lshlrev_b64 v[25:26], v25, 1
	v_mov_b32_e32 v6, v12
	v_not_b32_e32 v5, v5
	s_delay_alu instid0(VALU_DEP_1) | instskip(SKIP_1) | instid1(VALU_DEP_2)
	v_and_b32_e32 v5, v11, v5
	v_and_b32_e32 v11, 0x100000, v23
	v_cmp_eq_u64_e64 s0, v[5:6], v[25:26]
	s_delay_alu instid0(VALU_DEP_2) | instskip(SKIP_2) | instid1(VALU_DEP_3)
	v_cmp_eq_u64_e64 s1, 0, v[11:12]
	v_cndmask_b32_e64 v5, v22, 0xffffff8a, vcc_lo
	v_lshrrev_b32_e32 v6, 23, v23
	s_and_b32 vcc_lo, s1, s0
	s_delay_alu instid0(VALU_DEP_1) | instskip(SKIP_2) | instid1(VALU_DEP_2)
	v_add3_u32 v16, v5, v16, v6
	v_subrev_co_ci_u32_e32 v11, vcc_lo, 0, v23, vcc_lo
	s_mov_b32 s0, exec_lo
	v_add_nc_u32_e32 v22, -1, v16
	s_delay_alu instid0(VALU_DEP_2) | instskip(NEXT) | instid1(VALU_DEP_1)
	v_and_b32_e32 v5, 0xfffff, v11
                                        ; implicit-def: $vgpr11
	v_add_co_u32 v5, vcc_lo, v5, v23
	v_add_co_ci_u32_e32 v6, vcc_lo, 0, v24, vcc_lo
	s_delay_alu instid0(VALU_DEP_4)
	v_cmpx_ne_u32_e32 0, v22
	s_xor_b32 s0, exec_lo, s0
; %bb.52:                               ;   in Loop: Header=BB5_8 Depth=1
	s_delay_alu instid0(VALU_DEP_3) | instskip(SKIP_1) | instid1(VALU_DEP_2)
	v_and_b32_e32 v11, 0x1000000, v5
	v_bfe_u32 v23, v5, 24, 1
	v_cmp_eq_u64_e32 vcc_lo, 0, v[11:12]
	s_delay_alu instid0(VALU_DEP_2)
	v_lshrrev_b64 v[5:6], v23, v[5:6]
	v_cndmask_b32_e32 v11, v16, v22, vcc_lo
; %bb.53:                               ;   in Loop: Header=BB5_8 Depth=1
	s_and_not1_saveexec_b32 s0, s0
; %bb.54:                               ;   in Loop: Header=BB5_8 Depth=1
	s_delay_alu instid0(VALU_DEP_2)
	v_bfe_u32 v11, v5, 23, 1
; %bb.55:                               ;   in Loop: Header=BB5_8 Depth=1
	s_or_b32 exec_lo, exec_lo, s0
	s_delay_alu instid0(VALU_DEP_3) | instskip(NEXT) | instid1(VALU_DEP_2)
	v_lshrrev_b64 v[5:6], 20, v[5:6]
	v_cmp_gt_i32_e32 vcc_lo, 16, v11
	v_and_b32_e32 v2, 0x80, v2
	v_min_i32_e32 v16, 15, v11
	v_cmp_eq_u32_e64 s0, 0, v11
	v_dual_cndmask_b32 v5, 7, v5 :: v_dual_cndmask_b32 v6, 0, v6
	s_delay_alu instid0(VALU_DEP_3) | instskip(NEXT) | instid1(VALU_DEP_2)
	v_lshl_or_b32 v2, v16, 3, v2
	v_cmp_eq_u64_e32 vcc_lo, 0, v[5:6]
	s_delay_alu instid0(VALU_DEP_2)
	v_and_or_b32 v2, v5, 7, v2
	s_and_b32 s0, s0, vcc_lo
	s_delay_alu instid0(VALU_DEP_1) | instid1(SALU_CYCLE_1)
	v_cndmask_b32_e64 v5, v2, 0, s0
.LBB5_56:                               ;   in Loop: Header=BB5_8 Depth=1
	s_or_b32 exec_lo, exec_lo, s28
.LBB5_57:                               ;   in Loop: Header=BB5_8 Depth=1
	s_and_not1_saveexec_b32 s0, s27
	s_delay_alu instid0(SALU_CYCLE_1)
	s_or_b32 exec_lo, exec_lo, s0
.LBB5_58:                               ;   in Loop: Header=BB5_8 Depth=1
	s_and_not1_saveexec_b32 s0, s26
	s_delay_alu instid0(SALU_CYCLE_1) | instskip(SKIP_3) | instid1(VALU_DEP_2)
	s_or_b32 exec_lo, exec_lo, s0
	v_and_b32_e32 v2, 0xffff0000, v7
	v_and_b32_e32 v3, 0xffff0000, v3
	s_mov_b32 s0, exec_lo
	v_xor_b32_e32 v6, 0x80000000, v2
	v_cmp_o_f32_e32 vcc_lo, v2, v2
	s_delay_alu instid0(VALU_DEP_2) | instskip(NEXT) | instid1(VALU_DEP_1)
	v_bfe_u32 v7, v6, 16, 1
	v_add3_u32 v6, v6, v7, 0x7fff
	s_delay_alu instid0(VALU_DEP_1) | instskip(NEXT) | instid1(VALU_DEP_1)
	v_and_b32_e32 v6, 0xffff0000, v6
	v_cndmask_b32_e32 v6, 0x7fc00000, v6, vcc_lo
	s_delay_alu instid0(VALU_DEP_1) | instskip(SKIP_1) | instid1(VALU_DEP_2)
	v_mul_f32_e32 v7, 0x3fb8aa3b, v6
	v_cmp_ngt_f32_e32 vcc_lo, 0xc2ce8ed0, v6
	v_fma_f32 v11, 0x3fb8aa3b, v6, -v7
	v_rndne_f32_e32 v16, v7
	s_delay_alu instid0(VALU_DEP_2) | instskip(NEXT) | instid1(VALU_DEP_2)
	v_fmac_f32_e32 v11, 0x32a5705f, v6
	v_sub_f32_e32 v7, v7, v16
	s_delay_alu instid0(VALU_DEP_1) | instskip(SKIP_1) | instid1(VALU_DEP_2)
	v_add_f32_e32 v7, v7, v11
	v_cvt_i32_f32_e32 v11, v16
	v_exp_f32_e32 v7, v7
	s_waitcnt_depctr 0xfff
	v_ldexp_f32 v7, v7, v11
	s_delay_alu instid0(VALU_DEP_1) | instskip(SKIP_1) | instid1(VALU_DEP_2)
	v_cndmask_b32_e32 v7, 0, v7, vcc_lo
	v_cmp_nlt_f32_e32 vcc_lo, 0x42b17218, v6
	v_cndmask_b32_e32 v6, 0x7f800000, v7, vcc_lo
	s_delay_alu instid0(VALU_DEP_1) | instskip(NEXT) | instid1(VALU_DEP_1)
	v_add_f32_e32 v6, 1.0, v6
	v_div_scale_f32 v7, null, v6, v6, v2
	v_div_scale_f32 v22, vcc_lo, v2, v6, v2
	s_delay_alu instid0(VALU_DEP_2) | instskip(SKIP_2) | instid1(VALU_DEP_1)
	v_rcp_f32_e32 v11, v7
	s_waitcnt_depctr 0xfff
	v_fma_f32 v16, -v7, v11, 1.0
	v_fmac_f32_e32 v11, v16, v11
	s_delay_alu instid0(VALU_DEP_1) | instskip(NEXT) | instid1(VALU_DEP_1)
	v_mul_f32_e32 v16, v22, v11
	v_fma_f32 v23, -v7, v16, v22
	s_delay_alu instid0(VALU_DEP_1) | instskip(NEXT) | instid1(VALU_DEP_1)
	v_fmac_f32_e32 v16, v23, v11
	v_fma_f32 v7, -v7, v16, v22
	s_delay_alu instid0(VALU_DEP_1) | instskip(NEXT) | instid1(VALU_DEP_1)
	v_div_fmas_f32 v7, v7, v11, v16
	v_div_fixup_f32 v2, v7, v6, v2
	s_delay_alu instid0(VALU_DEP_1) | instskip(SKIP_1) | instid1(VALU_DEP_2)
	v_bfe_u32 v6, v2, 16, 1
	v_cmp_o_f32_e32 vcc_lo, v2, v2
	v_add3_u32 v6, v2, v6, 0x7fff
	s_delay_alu instid0(VALU_DEP_1) | instskip(NEXT) | instid1(VALU_DEP_1)
	v_and_b32_e32 v6, 0xffff0000, v6
	v_cndmask_b32_e32 v2, 0x7fc00000, v6, vcc_lo
	s_delay_alu instid0(VALU_DEP_1) | instskip(NEXT) | instid1(VALU_DEP_1)
	v_mul_f32_e32 v2, v2, v3
	v_bfe_u32 v3, v2, 16, 1
	v_cmp_o_f32_e32 vcc_lo, v2, v2
	s_delay_alu instid0(VALU_DEP_2) | instskip(NEXT) | instid1(VALU_DEP_1)
	v_add3_u32 v3, v2, v3, 0x7fff
	v_and_b32_e32 v3, 0xffff0000, v3
	s_delay_alu instid0(VALU_DEP_1) | instskip(NEXT) | instid1(VALU_DEP_1)
	v_cndmask_b32_e32 v2, 0x7fc00000, v3, vcc_lo
	v_mul_f32_e32 v2, v17, v2
	s_delay_alu instid0(VALU_DEP_1) | instskip(NEXT) | instid1(VALU_DEP_1)
	v_minmax_f32 v7, v2, s25, 0xc3600000
	v_lshrrev_b32_e32 v6, 24, v7
	v_and_b32_e32 v11, 0x7f800000, v7
	s_delay_alu instid0(VALU_DEP_2) | instskip(NEXT) | instid1(VALU_DEP_2)
	v_or_b32_e32 v2, 0x7f, v6
	v_cmpx_ne_u64_e32 0x7f800000, v[11:12]
	s_xor_b32 s26, exec_lo, s0
	s_cbranch_execz .LBB5_68
; %bb.59:                               ;   in Loop: Header=BB5_8 Depth=1
	v_and_b32_e32 v11, 0x7fffffff, v7
	s_mov_b32 s0, exec_lo
	s_delay_alu instid0(VALU_DEP_1)
	v_cmpx_gt_u64_e32 0x43700001, v[11:12]
	s_xor_b32 s27, exec_lo, s0
	s_cbranch_execz .LBB5_67
; %bb.60:                               ;   in Loop: Header=BB5_8 Depth=1
	s_mov_b32 s28, exec_lo
	v_mov_b32_e32 v2, 0
	v_mov_b32_e32 v3, 0
	v_cmpx_ne_u32_e32 0, v7
	s_cbranch_execz .LBB5_66
; %bb.61:                               ;   in Loop: Header=BB5_8 Depth=1
	v_bfe_u32 v16, v7, 23, 8
	v_and_b32_e32 v3, 0x7fffff, v7
	s_delay_alu instid0(VALU_DEP_2) | instskip(SKIP_2) | instid1(VALU_DEP_3)
	v_sub_nc_u32_e64 v2, 0x78, v16 clamp
	v_cmp_eq_u32_e32 vcc_lo, 0, v16
	v_add_nc_u32_e32 v16, 0xffffff89, v16
	v_cndmask_b32_e64 v7, v2, 0x77, vcc_lo
	v_or_b32_e32 v2, 0x800000, v3
	s_delay_alu instid0(VALU_DEP_2) | instskip(NEXT) | instid1(VALU_DEP_2)
	v_add_nc_u32_e32 v22, 20, v7
	v_cndmask_b32_e32 v11, v2, v3, vcc_lo
	s_delay_alu instid0(VALU_DEP_2) | instskip(SKIP_1) | instid1(VALU_DEP_3)
	v_lshlrev_b64 v[2:3], v22, -1
	v_add_nc_u32_e32 v22, 19, v7
	v_lshrrev_b64 v[23:24], v7, v[11:12]
	v_mov_b32_e32 v3, v12
	s_delay_alu instid0(VALU_DEP_3) | instskip(SKIP_1) | instid1(VALU_DEP_1)
	v_lshlrev_b64 v[25:26], v22, 1
	v_not_b32_e32 v2, v2
	v_and_b32_e32 v2, v11, v2
	v_and_b32_e32 v11, 0x100000, v23
	s_delay_alu instid0(VALU_DEP_2) | instskip(NEXT) | instid1(VALU_DEP_2)
	v_cmp_eq_u64_e64 s0, v[2:3], v[25:26]
	v_cmp_eq_u64_e64 s1, 0, v[11:12]
	v_cndmask_b32_e64 v2, v16, 0xffffff8a, vcc_lo
	v_lshrrev_b32_e32 v3, 23, v23
	s_delay_alu instid0(VALU_DEP_3) | instskip(NEXT) | instid1(VALU_DEP_1)
	s_and_b32 vcc_lo, s1, s0
	v_add3_u32 v16, v2, v7, v3
	v_subrev_co_ci_u32_e32 v11, vcc_lo, 0, v23, vcc_lo
	s_mov_b32 s0, exec_lo
                                        ; implicit-def: $vgpr7
	s_delay_alu instid0(VALU_DEP_2) | instskip(NEXT) | instid1(VALU_DEP_2)
	v_add_nc_u32_e32 v22, -1, v16
	v_and_b32_e32 v2, 0xfffff, v11
	s_delay_alu instid0(VALU_DEP_1) | instskip(SKIP_1) | instid1(VALU_DEP_4)
	v_add_co_u32 v2, vcc_lo, v2, v23
	v_add_co_ci_u32_e32 v3, vcc_lo, 0, v24, vcc_lo
	v_cmpx_ne_u32_e32 0, v22
	s_xor_b32 s0, exec_lo, s0
; %bb.62:                               ;   in Loop: Header=BB5_8 Depth=1
	s_delay_alu instid0(VALU_DEP_3) | instskip(SKIP_1) | instid1(VALU_DEP_2)
	v_and_b32_e32 v11, 0x1000000, v2
	v_bfe_u32 v7, v2, 24, 1
	v_cmp_eq_u64_e32 vcc_lo, 0, v[11:12]
	s_delay_alu instid0(VALU_DEP_2)
	v_lshrrev_b64 v[2:3], v7, v[2:3]
	v_cndmask_b32_e32 v7, v16, v22, vcc_lo
; %bb.63:                               ;   in Loop: Header=BB5_8 Depth=1
	s_and_not1_saveexec_b32 s0, s0
; %bb.64:                               ;   in Loop: Header=BB5_8 Depth=1
	s_delay_alu instid0(VALU_DEP_2)
	v_bfe_u32 v7, v2, 23, 1
; %bb.65:                               ;   in Loop: Header=BB5_8 Depth=1
	s_or_b32 exec_lo, exec_lo, s0
	s_delay_alu instid0(VALU_DEP_3) | instskip(NEXT) | instid1(VALU_DEP_2)
	v_lshrrev_b64 v[2:3], 20, v[2:3]
	v_cmp_gt_i32_e32 vcc_lo, 16, v7
	v_and_b32_e32 v6, 0x80, v6
	v_min_i32_e32 v11, 15, v7
	v_cmp_eq_u32_e64 s0, 0, v7
	v_dual_cndmask_b32 v3, 0, v3 :: v_dual_cndmask_b32 v2, 7, v2
	s_delay_alu instid0(VALU_DEP_3) | instskip(NEXT) | instid1(VALU_DEP_2)
	v_lshl_or_b32 v6, v11, 3, v6
	v_cmp_eq_u64_e32 vcc_lo, 0, v[2:3]
	s_delay_alu instid0(VALU_DEP_2)
	v_and_or_b32 v2, v2, 7, v6
	s_and_b32 s0, s0, vcc_lo
	s_delay_alu instid0(VALU_DEP_1) | instid1(SALU_CYCLE_1)
	v_cndmask_b32_e64 v2, v2, 0, s0
.LBB5_66:                               ;   in Loop: Header=BB5_8 Depth=1
	s_or_b32 exec_lo, exec_lo, s28
.LBB5_67:                               ;   in Loop: Header=BB5_8 Depth=1
	s_and_not1_saveexec_b32 s0, s27
	s_delay_alu instid0(SALU_CYCLE_1)
	s_or_b32 exec_lo, exec_lo, s0
.LBB5_68:                               ;   in Loop: Header=BB5_8 Depth=1
	s_and_not1_saveexec_b32 s0, s26
	s_delay_alu instid0(SALU_CYCLE_1) | instskip(SKIP_2) | instid1(VALU_DEP_1)
	s_or_b32 exec_lo, exec_lo, s0
	v_lshlrev_b32_e32 v3, 16, v8
	s_mov_b32 s0, exec_lo
	v_xor_b32_e32 v6, 0x80000000, v3
	v_cmp_o_f32_e32 vcc_lo, v3, v3
	s_delay_alu instid0(VALU_DEP_2) | instskip(NEXT) | instid1(VALU_DEP_1)
	v_bfe_u32 v7, v6, 16, 1
	v_add3_u32 v6, v6, v7, 0x7fff
	s_delay_alu instid0(VALU_DEP_1) | instskip(NEXT) | instid1(VALU_DEP_1)
	v_and_b32_e32 v6, 0xffff0000, v6
	v_cndmask_b32_e32 v6, 0x7fc00000, v6, vcc_lo
	s_delay_alu instid0(VALU_DEP_1) | instskip(SKIP_1) | instid1(VALU_DEP_2)
	v_mul_f32_e32 v7, 0x3fb8aa3b, v6
	v_cmp_ngt_f32_e32 vcc_lo, 0xc2ce8ed0, v6
	v_fma_f32 v11, 0x3fb8aa3b, v6, -v7
	v_rndne_f32_e32 v16, v7
	s_delay_alu instid0(VALU_DEP_2) | instskip(NEXT) | instid1(VALU_DEP_2)
	v_fmac_f32_e32 v11, 0x32a5705f, v6
	v_sub_f32_e32 v7, v7, v16
	s_delay_alu instid0(VALU_DEP_1) | instskip(SKIP_1) | instid1(VALU_DEP_2)
	v_add_f32_e32 v7, v7, v11
	v_cvt_i32_f32_e32 v11, v16
	v_exp_f32_e32 v7, v7
	s_waitcnt_depctr 0xfff
	v_ldexp_f32 v7, v7, v11
	s_delay_alu instid0(VALU_DEP_1) | instskip(SKIP_1) | instid1(VALU_DEP_2)
	v_cndmask_b32_e32 v7, 0, v7, vcc_lo
	v_cmp_nlt_f32_e32 vcc_lo, 0x42b17218, v6
	v_cndmask_b32_e32 v6, 0x7f800000, v7, vcc_lo
	s_delay_alu instid0(VALU_DEP_1) | instskip(NEXT) | instid1(VALU_DEP_1)
	v_add_f32_e32 v6, 1.0, v6
	v_div_scale_f32 v7, null, v6, v6, v3
	v_div_scale_f32 v22, vcc_lo, v3, v6, v3
	s_delay_alu instid0(VALU_DEP_2) | instskip(SKIP_2) | instid1(VALU_DEP_1)
	v_rcp_f32_e32 v11, v7
	s_waitcnt_depctr 0xfff
	v_fma_f32 v16, -v7, v11, 1.0
	v_fmac_f32_e32 v11, v16, v11
	s_delay_alu instid0(VALU_DEP_1) | instskip(NEXT) | instid1(VALU_DEP_1)
	v_mul_f32_e32 v16, v22, v11
	v_fma_f32 v23, -v7, v16, v22
	s_delay_alu instid0(VALU_DEP_1) | instskip(NEXT) | instid1(VALU_DEP_1)
	v_fmac_f32_e32 v16, v23, v11
	v_fma_f32 v7, -v7, v16, v22
	s_delay_alu instid0(VALU_DEP_1) | instskip(NEXT) | instid1(VALU_DEP_1)
	v_div_fmas_f32 v7, v7, v11, v16
	v_div_fixup_f32 v3, v7, v6, v3
	s_delay_alu instid0(VALU_DEP_1) | instskip(SKIP_1) | instid1(VALU_DEP_2)
	v_bfe_u32 v6, v3, 16, 1
	v_cmp_o_f32_e32 vcc_lo, v3, v3
	v_add3_u32 v6, v3, v6, 0x7fff
	s_delay_alu instid0(VALU_DEP_1) | instskip(NEXT) | instid1(VALU_DEP_1)
	v_and_b32_e32 v6, 0xffff0000, v6
	v_dual_cndmask_b32 v3, 0x7fc00000, v6 :: v_dual_lshlrev_b32 v6, 16, v4
	s_delay_alu instid0(VALU_DEP_1) | instskip(NEXT) | instid1(VALU_DEP_1)
	v_mul_f32_e32 v3, v3, v6
	v_bfe_u32 v6, v3, 16, 1
	v_cmp_o_f32_e32 vcc_lo, v3, v3
	s_delay_alu instid0(VALU_DEP_2) | instskip(NEXT) | instid1(VALU_DEP_1)
	v_add3_u32 v6, v3, v6, 0x7fff
	v_and_b32_e32 v6, 0xffff0000, v6
	s_delay_alu instid0(VALU_DEP_1) | instskip(NEXT) | instid1(VALU_DEP_1)
	v_cndmask_b32_e32 v3, 0x7fc00000, v6, vcc_lo
	v_mul_f32_e32 v3, v17, v3
	s_delay_alu instid0(VALU_DEP_1) | instskip(NEXT) | instid1(VALU_DEP_1)
	v_minmax_f32 v16, v3, s25, 0xc3600000
	v_lshrrev_b32_e32 v3, 24, v16
	v_and_b32_e32 v11, 0x7f800000, v16
	s_delay_alu instid0(VALU_DEP_2) | instskip(NEXT) | instid1(VALU_DEP_2)
	v_or_b32_e32 v6, 0x7f, v3
	v_cmpx_ne_u64_e32 0x7f800000, v[11:12]
	s_xor_b32 s26, exec_lo, s0
	s_cbranch_execz .LBB5_78
; %bb.69:                               ;   in Loop: Header=BB5_8 Depth=1
	v_and_b32_e32 v11, 0x7fffffff, v16
	s_mov_b32 s0, exec_lo
	s_delay_alu instid0(VALU_DEP_1)
	v_cmpx_gt_u64_e32 0x43700001, v[11:12]
	s_xor_b32 s27, exec_lo, s0
	s_cbranch_execz .LBB5_77
; %bb.70:                               ;   in Loop: Header=BB5_8 Depth=1
	s_mov_b32 s28, exec_lo
	v_mov_b32_e32 v6, 0
	v_mov_b32_e32 v7, 0
	v_cmpx_ne_u32_e32 0, v16
	s_cbranch_execz .LBB5_76
; %bb.71:                               ;   in Loop: Header=BB5_8 Depth=1
	v_bfe_u32 v22, v16, 23, 8
	v_and_b32_e32 v7, 0x7fffff, v16
	s_delay_alu instid0(VALU_DEP_2) | instskip(SKIP_2) | instid1(VALU_DEP_3)
	v_sub_nc_u32_e64 v6, 0x78, v22 clamp
	v_cmp_eq_u32_e32 vcc_lo, 0, v22
	v_add_nc_u32_e32 v22, 0xffffff89, v22
	v_cndmask_b32_e64 v16, v6, 0x77, vcc_lo
	v_or_b32_e32 v6, 0x800000, v7
	s_delay_alu instid0(VALU_DEP_2) | instskip(NEXT) | instid1(VALU_DEP_2)
	v_add_nc_u32_e32 v23, 20, v16
	v_cndmask_b32_e32 v11, v6, v7, vcc_lo
	v_add_nc_u32_e32 v25, 19, v16
	s_delay_alu instid0(VALU_DEP_3) | instskip(NEXT) | instid1(VALU_DEP_3)
	v_lshlrev_b64 v[6:7], v23, -1
	v_lshrrev_b64 v[23:24], v16, v[11:12]
	s_delay_alu instid0(VALU_DEP_3) | instskip(NEXT) | instid1(VALU_DEP_3)
	v_lshlrev_b64 v[25:26], v25, 1
	v_not_b32_e32 v6, v6
	s_delay_alu instid0(VALU_DEP_1) | instskip(NEXT) | instid1(VALU_DEP_4)
	v_dual_mov_b32 v7, v12 :: v_dual_and_b32 v6, v11, v6
	v_and_b32_e32 v11, 0x100000, v23
	s_delay_alu instid0(VALU_DEP_2) | instskip(NEXT) | instid1(VALU_DEP_2)
	v_cmp_eq_u64_e64 s0, v[6:7], v[25:26]
	v_cmp_eq_u64_e64 s1, 0, v[11:12]
	v_cndmask_b32_e64 v6, v22, 0xffffff8a, vcc_lo
	v_lshrrev_b32_e32 v7, 23, v23
	s_delay_alu instid0(VALU_DEP_3) | instskip(NEXT) | instid1(VALU_DEP_1)
	s_and_b32 vcc_lo, s1, s0
	v_add3_u32 v16, v6, v16, v7
	v_subrev_co_ci_u32_e32 v11, vcc_lo, 0, v23, vcc_lo
	s_mov_b32 s0, exec_lo
	s_delay_alu instid0(VALU_DEP_2) | instskip(NEXT) | instid1(VALU_DEP_2)
	v_add_nc_u32_e32 v22, -1, v16
	v_and_b32_e32 v6, 0xfffff, v11
                                        ; implicit-def: $vgpr11
	s_delay_alu instid0(VALU_DEP_1) | instskip(SKIP_1) | instid1(VALU_DEP_4)
	v_add_co_u32 v6, vcc_lo, v6, v23
	v_add_co_ci_u32_e32 v7, vcc_lo, 0, v24, vcc_lo
	v_cmpx_ne_u32_e32 0, v22
	s_xor_b32 s0, exec_lo, s0
; %bb.72:                               ;   in Loop: Header=BB5_8 Depth=1
	s_delay_alu instid0(VALU_DEP_3) | instskip(SKIP_1) | instid1(VALU_DEP_2)
	v_and_b32_e32 v11, 0x1000000, v6
	v_bfe_u32 v23, v6, 24, 1
	v_cmp_eq_u64_e32 vcc_lo, 0, v[11:12]
	s_delay_alu instid0(VALU_DEP_2)
	v_lshrrev_b64 v[6:7], v23, v[6:7]
	v_cndmask_b32_e32 v11, v16, v22, vcc_lo
; %bb.73:                               ;   in Loop: Header=BB5_8 Depth=1
	s_and_not1_saveexec_b32 s0, s0
; %bb.74:                               ;   in Loop: Header=BB5_8 Depth=1
	s_delay_alu instid0(VALU_DEP_2)
	v_bfe_u32 v11, v6, 23, 1
; %bb.75:                               ;   in Loop: Header=BB5_8 Depth=1
	s_or_b32 exec_lo, exec_lo, s0
	s_delay_alu instid0(VALU_DEP_3) | instskip(NEXT) | instid1(VALU_DEP_2)
	v_lshrrev_b64 v[6:7], 20, v[6:7]
	v_cmp_gt_i32_e32 vcc_lo, 16, v11
	v_and_b32_e32 v3, 0x80, v3
	v_min_i32_e32 v16, 15, v11
	v_cmp_eq_u32_e64 s0, 0, v11
	v_dual_cndmask_b32 v6, 7, v6 :: v_dual_cndmask_b32 v7, 0, v7
	s_delay_alu instid0(VALU_DEP_3) | instskip(NEXT) | instid1(VALU_DEP_2)
	v_lshl_or_b32 v3, v16, 3, v3
	v_cmp_eq_u64_e32 vcc_lo, 0, v[6:7]
	s_delay_alu instid0(VALU_DEP_2)
	v_and_or_b32 v3, v6, 7, v3
	s_and_b32 s0, s0, vcc_lo
	s_delay_alu instid0(VALU_DEP_1) | instid1(SALU_CYCLE_1)
	v_cndmask_b32_e64 v6, v3, 0, s0
.LBB5_76:                               ;   in Loop: Header=BB5_8 Depth=1
	s_or_b32 exec_lo, exec_lo, s28
.LBB5_77:                               ;   in Loop: Header=BB5_8 Depth=1
	s_and_not1_saveexec_b32 s0, s27
	s_delay_alu instid0(SALU_CYCLE_1)
	s_or_b32 exec_lo, exec_lo, s0
.LBB5_78:                               ;   in Loop: Header=BB5_8 Depth=1
	s_and_not1_saveexec_b32 s0, s26
	s_delay_alu instid0(SALU_CYCLE_1) | instskip(SKIP_3) | instid1(VALU_DEP_2)
	s_or_b32 exec_lo, exec_lo, s0
	v_and_b32_e32 v3, 0xffff0000, v8
	v_and_b32_e32 v4, 0xffff0000, v4
	s_mov_b32 s0, exec_lo
	v_xor_b32_e32 v7, 0x80000000, v3
	v_cmp_o_f32_e32 vcc_lo, v3, v3
	s_delay_alu instid0(VALU_DEP_2) | instskip(NEXT) | instid1(VALU_DEP_1)
	v_bfe_u32 v8, v7, 16, 1
	v_add3_u32 v7, v7, v8, 0x7fff
	s_delay_alu instid0(VALU_DEP_1) | instskip(NEXT) | instid1(VALU_DEP_1)
	v_and_b32_e32 v7, 0xffff0000, v7
	v_cndmask_b32_e32 v7, 0x7fc00000, v7, vcc_lo
	s_delay_alu instid0(VALU_DEP_1) | instskip(SKIP_1) | instid1(VALU_DEP_2)
	v_mul_f32_e32 v8, 0x3fb8aa3b, v7
	v_cmp_ngt_f32_e32 vcc_lo, 0xc2ce8ed0, v7
	v_fma_f32 v11, 0x3fb8aa3b, v7, -v8
	v_rndne_f32_e32 v16, v8
	s_delay_alu instid0(VALU_DEP_1) | instskip(NEXT) | instid1(VALU_DEP_1)
	v_dual_fmac_f32 v11, 0x32a5705f, v7 :: v_dual_sub_f32 v8, v8, v16
	v_add_f32_e32 v8, v8, v11
	v_cvt_i32_f32_e32 v11, v16
	s_delay_alu instid0(VALU_DEP_2) | instskip(SKIP_2) | instid1(VALU_DEP_1)
	v_exp_f32_e32 v8, v8
	s_waitcnt_depctr 0xfff
	v_ldexp_f32 v8, v8, v11
	v_cndmask_b32_e32 v8, 0, v8, vcc_lo
	v_cmp_nlt_f32_e32 vcc_lo, 0x42b17218, v7
	s_delay_alu instid0(VALU_DEP_2) | instskip(NEXT) | instid1(VALU_DEP_1)
	v_cndmask_b32_e32 v7, 0x7f800000, v8, vcc_lo
	v_add_f32_e32 v7, 1.0, v7
	s_delay_alu instid0(VALU_DEP_1) | instskip(SKIP_1) | instid1(VALU_DEP_2)
	v_div_scale_f32 v8, null, v7, v7, v3
	v_div_scale_f32 v22, vcc_lo, v3, v7, v3
	v_rcp_f32_e32 v11, v8
	s_waitcnt_depctr 0xfff
	v_fma_f32 v16, -v8, v11, 1.0
	s_delay_alu instid0(VALU_DEP_1) | instskip(NEXT) | instid1(VALU_DEP_1)
	v_fmac_f32_e32 v11, v16, v11
	v_mul_f32_e32 v16, v22, v11
	s_delay_alu instid0(VALU_DEP_1) | instskip(NEXT) | instid1(VALU_DEP_1)
	v_fma_f32 v23, -v8, v16, v22
	v_fmac_f32_e32 v16, v23, v11
	s_delay_alu instid0(VALU_DEP_1) | instskip(NEXT) | instid1(VALU_DEP_1)
	v_fma_f32 v8, -v8, v16, v22
	v_div_fmas_f32 v8, v8, v11, v16
	s_delay_alu instid0(VALU_DEP_1) | instskip(NEXT) | instid1(VALU_DEP_1)
	v_div_fixup_f32 v3, v8, v7, v3
	v_bfe_u32 v7, v3, 16, 1
	v_cmp_o_f32_e32 vcc_lo, v3, v3
	s_delay_alu instid0(VALU_DEP_2) | instskip(NEXT) | instid1(VALU_DEP_1)
	v_add3_u32 v7, v3, v7, 0x7fff
	v_and_b32_e32 v7, 0xffff0000, v7
	s_delay_alu instid0(VALU_DEP_1) | instskip(NEXT) | instid1(VALU_DEP_1)
	v_cndmask_b32_e32 v3, 0x7fc00000, v7, vcc_lo
	v_mul_f32_e32 v3, v3, v4
	s_delay_alu instid0(VALU_DEP_1) | instskip(SKIP_1) | instid1(VALU_DEP_2)
	v_bfe_u32 v4, v3, 16, 1
	v_cmp_o_f32_e32 vcc_lo, v3, v3
	v_add3_u32 v4, v3, v4, 0x7fff
	s_delay_alu instid0(VALU_DEP_1) | instskip(NEXT) | instid1(VALU_DEP_1)
	v_and_b32_e32 v4, 0xffff0000, v4
	v_cndmask_b32_e32 v3, 0x7fc00000, v4, vcc_lo
	s_delay_alu instid0(VALU_DEP_1) | instskip(NEXT) | instid1(VALU_DEP_1)
	v_mul_f32_e32 v3, v17, v3
	v_minmax_f32 v8, v3, s25, 0xc3600000
	s_delay_alu instid0(VALU_DEP_1) | instskip(SKIP_1) | instid1(VALU_DEP_2)
	v_lshrrev_b32_e32 v7, 24, v8
	v_and_b32_e32 v11, 0x7f800000, v8
	v_or_b32_e32 v3, 0x7f, v7
	s_delay_alu instid0(VALU_DEP_2)
	v_cmpx_ne_u64_e32 0x7f800000, v[11:12]
	s_xor_b32 s26, exec_lo, s0
	s_cbranch_execz .LBB5_7
; %bb.79:                               ;   in Loop: Header=BB5_8 Depth=1
	v_and_b32_e32 v11, 0x7fffffff, v8
	s_mov_b32 s0, exec_lo
	s_delay_alu instid0(VALU_DEP_1)
	v_cmpx_gt_u64_e32 0x43700001, v[11:12]
	s_xor_b32 s27, exec_lo, s0
	s_cbranch_execz .LBB5_6
; %bb.80:                               ;   in Loop: Header=BB5_8 Depth=1
	s_mov_b32 s28, exec_lo
	v_mov_b32_e32 v3, 0
	v_mov_b32_e32 v4, 0
	v_cmpx_ne_u32_e32 0, v8
	s_cbranch_execz .LBB5_5
; %bb.81:                               ;   in Loop: Header=BB5_8 Depth=1
	v_bfe_u32 v16, v8, 23, 8
	v_and_b32_e32 v4, 0x7fffff, v8
	s_delay_alu instid0(VALU_DEP_2) | instskip(SKIP_2) | instid1(VALU_DEP_3)
	v_sub_nc_u32_e64 v3, 0x78, v16 clamp
	v_cmp_eq_u32_e32 vcc_lo, 0, v16
	v_add_nc_u32_e32 v16, 0xffffff89, v16
	v_cndmask_b32_e64 v8, v3, 0x77, vcc_lo
	v_or_b32_e32 v3, 0x800000, v4
	s_delay_alu instid0(VALU_DEP_2) | instskip(NEXT) | instid1(VALU_DEP_2)
	v_add_nc_u32_e32 v22, 20, v8
	v_cndmask_b32_e32 v11, v3, v4, vcc_lo
	s_delay_alu instid0(VALU_DEP_2) | instskip(SKIP_2) | instid1(VALU_DEP_4)
	v_lshlrev_b64 v[3:4], v22, -1
	v_mov_b32_e32 v4, v12
	v_add_nc_u32_e32 v22, 19, v8
	v_lshrrev_b64 v[23:24], v8, v[11:12]
	s_delay_alu instid0(VALU_DEP_4) | instskip(NEXT) | instid1(VALU_DEP_3)
	v_not_b32_e32 v3, v3
	v_lshlrev_b64 v[25:26], v22, 1
	s_delay_alu instid0(VALU_DEP_2) | instskip(NEXT) | instid1(VALU_DEP_4)
	v_and_b32_e32 v3, v11, v3
	v_and_b32_e32 v11, 0x100000, v23
	s_delay_alu instid0(VALU_DEP_2) | instskip(NEXT) | instid1(VALU_DEP_2)
	v_cmp_eq_u64_e64 s0, v[3:4], v[25:26]
	v_cmp_eq_u64_e64 s1, 0, v[11:12]
	v_cndmask_b32_e64 v3, v16, 0xffffff8a, vcc_lo
	v_lshrrev_b32_e32 v4, 23, v23
	s_delay_alu instid0(VALU_DEP_3) | instskip(NEXT) | instid1(VALU_DEP_1)
	s_and_b32 vcc_lo, s1, s0
	v_add3_u32 v16, v3, v8, v4
	v_subrev_co_ci_u32_e32 v11, vcc_lo, 0, v23, vcc_lo
	s_mov_b32 s0, exec_lo
                                        ; implicit-def: $vgpr8
	s_delay_alu instid0(VALU_DEP_2) | instskip(NEXT) | instid1(VALU_DEP_2)
	v_add_nc_u32_e32 v22, -1, v16
	v_and_b32_e32 v3, 0xfffff, v11
	s_delay_alu instid0(VALU_DEP_1) | instskip(SKIP_1) | instid1(VALU_DEP_4)
	v_add_co_u32 v3, vcc_lo, v3, v23
	v_add_co_ci_u32_e32 v4, vcc_lo, 0, v24, vcc_lo
	v_cmpx_ne_u32_e32 0, v22
	s_xor_b32 s0, exec_lo, s0
; %bb.82:                               ;   in Loop: Header=BB5_8 Depth=1
	s_delay_alu instid0(VALU_DEP_3) | instskip(SKIP_1) | instid1(VALU_DEP_2)
	v_and_b32_e32 v11, 0x1000000, v3
	v_bfe_u32 v8, v3, 24, 1
	v_cmp_eq_u64_e32 vcc_lo, 0, v[11:12]
	s_delay_alu instid0(VALU_DEP_2)
	v_lshrrev_b64 v[3:4], v8, v[3:4]
	v_cndmask_b32_e32 v8, v16, v22, vcc_lo
; %bb.83:                               ;   in Loop: Header=BB5_8 Depth=1
	s_and_not1_saveexec_b32 s0, s0
	s_cbranch_execz .LBB5_4
; %bb.84:                               ;   in Loop: Header=BB5_8 Depth=1
	s_delay_alu instid0(VALU_DEP_2)
	v_bfe_u32 v8, v3, 23, 1
	s_branch .LBB5_4
.LBB5_85:
	s_or_b32 exec_lo, exec_lo, s18
	s_sub_i32 s0, 8, s3
	s_delay_alu instid0(SALU_CYCLE_1)
	s_cmp_gt_i32 s2, s0
	s_cbranch_scc0 .LBB5_99
; %bb.86:
	v_add_nc_u32_e32 v0, s0, v0
	s_mov_b32 s0, exec_lo
	s_delay_alu instid0(VALU_DEP_1)
	v_cmpx_gt_i32_e64 s2, v0
	s_cbranch_execz .LBB5_99
; %bb.87:
	s_load_b32 s13, s[8:9], 0xc
	v_dual_mov_b32 v1, 0 :: v_dual_lshlrev_b32 v2, 1, v0
	s_ashr_i32 s3, s2, 31
	s_add_u32 s9, s4, s10
	s_addc_u32 s12, s5, s11
	s_lshl_b64 s[0:1], s[14:15], 2
	v_add_co_u32 v6, s6, s6, v2
	s_or_b32 s0, s0, 2
	s_lshl_b64 s[4:5], s[10:11], 2
	v_add_co_ci_u32_e64 v7, null, s7, 0, s6
	s_mul_i32 s7, s0, s17
	s_mul_hi_u32 s10, s0, s16
	v_dual_mov_b32 v3, v1 :: v_dual_mov_b32 v2, v0
	s_mul_i32 s1, s1, s16
	s_mul_i32 s6, s0, s16
	s_add_i32 s0, s10, s7
	s_waitcnt lgkmcnt(0)
	s_and_b32 s7, s13, 0xffff
	s_mov_b32 s8, 0
	s_add_i32 s10, s0, s1
	s_lshl_b32 s11, s7, 1
	s_mov_b32 s13, 0x43600000
	s_branch .LBB5_92
.LBB5_88:                               ;   in Loop: Header=BB5_92 Depth=1
	s_or_b32 exec_lo, exec_lo, s0
	s_delay_alu instid0(VALU_DEP_2) | instskip(NEXT) | instid1(VALU_DEP_2)
	v_lshrrev_b64 v[4:5], 20, v[4:5]
	v_cmp_gt_i32_e32 vcc_lo, 16, v0
	v_and_b32_e32 v8, 0x80, v8
	v_min_i32_e32 v9, 15, v0
	v_cmp_eq_u32_e64 s0, 0, v0
	v_dual_cndmask_b32 v5, 0, v5 :: v_dual_cndmask_b32 v4, 7, v4
	s_delay_alu instid0(VALU_DEP_3) | instskip(NEXT) | instid1(VALU_DEP_2)
	v_lshl_or_b32 v8, v9, 3, v8
	v_cmp_eq_u64_e32 vcc_lo, 0, v[4:5]
	s_delay_alu instid0(VALU_DEP_2)
	v_and_or_b32 v0, v4, 7, v8
	s_and_b32 s0, s0, vcc_lo
	s_delay_alu instid0(VALU_DEP_1) | instid1(SALU_CYCLE_1)
	v_cndmask_b32_e64 v4, v0, 0, s0
.LBB5_89:                               ;   in Loop: Header=BB5_92 Depth=1
	s_or_b32 exec_lo, exec_lo, s16
.LBB5_90:                               ;   in Loop: Header=BB5_92 Depth=1
	s_and_not1_saveexec_b32 s0, s15
	s_delay_alu instid0(SALU_CYCLE_1)
	s_or_b32 exec_lo, exec_lo, s0
.LBB5_91:                               ;   in Loop: Header=BB5_92 Depth=1
	s_and_not1_saveexec_b32 s0, s14
	s_delay_alu instid0(SALU_CYCLE_1)
	s_or_b32 exec_lo, exec_lo, s0
	v_add_co_u32 v8, vcc_lo, s9, v2
	v_add_co_ci_u32_e32 v9, vcc_lo, s12, v3, vcc_lo
	v_add_co_u32 v2, vcc_lo, v2, s7
	v_add_co_ci_u32_e32 v3, vcc_lo, 0, v3, vcc_lo
	v_add_co_u32 v6, s0, v6, s11
	s_delay_alu instid0(VALU_DEP_1) | instskip(NEXT) | instid1(VALU_DEP_3)
	v_add_co_ci_u32_e64 v7, s0, 0, v7, s0
	v_cmp_le_i64_e32 vcc_lo, s[2:3], v[2:3]
	global_store_b8 v[8:9], v4, off
	s_or_b32 s8, vcc_lo, s8
	s_delay_alu instid0(SALU_CYCLE_1)
	s_and_not1_b32 exec_lo, exec_lo, s8
	s_cbranch_execz .LBB5_99
.LBB5_92:                               ; =>This Inner Loop Header: Depth=1
	v_add_co_u32 v4, vcc_lo, v6, s4
	v_add_co_ci_u32_e32 v5, vcc_lo, s5, v7, vcc_lo
	s_mov_b32 s0, exec_lo
	global_load_u16 v0, v[4:5], off
	v_add_co_u32 v4, vcc_lo, v6, s6
	v_add_co_ci_u32_e32 v5, vcc_lo, s10, v7, vcc_lo
	global_load_u16 v4, v[4:5], off
	s_waitcnt vmcnt(1)
	v_lshlrev_b32_e32 v0, 16, v0
	s_delay_alu instid0(VALU_DEP_1) | instskip(SKIP_3) | instid1(VALU_DEP_3)
	v_xor_b32_e32 v5, 0x80000000, v0
	v_cmp_o_f32_e32 vcc_lo, v0, v0
	s_waitcnt vmcnt(0)
	v_lshlrev_b32_e32 v4, 16, v4
	v_bfe_u32 v8, v5, 16, 1
	s_delay_alu instid0(VALU_DEP_1) | instskip(NEXT) | instid1(VALU_DEP_1)
	v_add3_u32 v5, v5, v8, 0x7fff
	v_and_b32_e32 v5, 0xffff0000, v5
	s_delay_alu instid0(VALU_DEP_1) | instskip(NEXT) | instid1(VALU_DEP_1)
	v_cndmask_b32_e32 v5, 0x7fc00000, v5, vcc_lo
	v_mul_f32_e32 v8, 0x3fb8aa3b, v5
	v_cmp_ngt_f32_e32 vcc_lo, 0xc2ce8ed0, v5
	s_delay_alu instid0(VALU_DEP_2) | instskip(SKIP_1) | instid1(VALU_DEP_1)
	v_fma_f32 v9, 0x3fb8aa3b, v5, -v8
	v_rndne_f32_e32 v10, v8
	v_dual_fmac_f32 v9, 0x32a5705f, v5 :: v_dual_sub_f32 v8, v8, v10
	s_delay_alu instid0(VALU_DEP_1) | instskip(SKIP_1) | instid1(VALU_DEP_2)
	v_add_f32_e32 v8, v8, v9
	v_cvt_i32_f32_e32 v9, v10
	v_exp_f32_e32 v8, v8
	s_waitcnt_depctr 0xfff
	v_ldexp_f32 v8, v8, v9
	s_delay_alu instid0(VALU_DEP_1) | instskip(SKIP_1) | instid1(VALU_DEP_2)
	v_cndmask_b32_e32 v8, 0, v8, vcc_lo
	v_cmp_nlt_f32_e32 vcc_lo, 0x42b17218, v5
	v_cndmask_b32_e32 v5, 0x7f800000, v8, vcc_lo
	s_delay_alu instid0(VALU_DEP_1) | instskip(NEXT) | instid1(VALU_DEP_1)
	v_add_f32_e32 v5, 1.0, v5
	v_div_scale_f32 v8, null, v5, v5, v0
	v_div_scale_f32 v11, vcc_lo, v0, v5, v0
	s_delay_alu instid0(VALU_DEP_2) | instskip(SKIP_2) | instid1(VALU_DEP_1)
	v_rcp_f32_e32 v9, v8
	s_waitcnt_depctr 0xfff
	v_fma_f32 v10, -v8, v9, 1.0
	v_fmac_f32_e32 v9, v10, v9
	s_delay_alu instid0(VALU_DEP_1) | instskip(NEXT) | instid1(VALU_DEP_1)
	v_mul_f32_e32 v10, v11, v9
	v_fma_f32 v12, -v8, v10, v11
	s_delay_alu instid0(VALU_DEP_1) | instskip(NEXT) | instid1(VALU_DEP_1)
	v_fmac_f32_e32 v10, v12, v9
	v_fma_f32 v8, -v8, v10, v11
	s_delay_alu instid0(VALU_DEP_1) | instskip(NEXT) | instid1(VALU_DEP_1)
	v_div_fmas_f32 v8, v8, v9, v10
	v_div_fixup_f32 v0, v8, v5, v0
	s_delay_alu instid0(VALU_DEP_1) | instskip(SKIP_1) | instid1(VALU_DEP_2)
	v_bfe_u32 v5, v0, 16, 1
	v_cmp_o_f32_e32 vcc_lo, v0, v0
	v_add3_u32 v5, v0, v5, 0x7fff
	s_delay_alu instid0(VALU_DEP_1) | instskip(NEXT) | instid1(VALU_DEP_1)
	v_and_b32_e32 v5, 0xffff0000, v5
	v_cndmask_b32_e32 v0, 0x7fc00000, v5, vcc_lo
	s_delay_alu instid0(VALU_DEP_1) | instskip(NEXT) | instid1(VALU_DEP_1)
	v_mul_f32_e32 v0, v0, v4
	v_bfe_u32 v4, v0, 16, 1
	v_cmp_o_f32_e32 vcc_lo, v0, v0
	s_delay_alu instid0(VALU_DEP_2) | instskip(NEXT) | instid1(VALU_DEP_1)
	v_add3_u32 v4, v0, v4, 0x7fff
	v_and_b32_e32 v4, 0xffff0000, v4
	s_delay_alu instid0(VALU_DEP_1) | instskip(NEXT) | instid1(VALU_DEP_1)
	v_cndmask_b32_e32 v0, 0x7fc00000, v4, vcc_lo
	v_mul_f32_e32 v0, v17, v0
	s_delay_alu instid0(VALU_DEP_1) | instskip(NEXT) | instid1(VALU_DEP_1)
	v_minmax_f32 v5, v0, s13, 0xc3600000
	v_lshrrev_b32_e32 v8, 24, v5
	v_and_b32_e32 v0, 0x7f800000, v5
	s_delay_alu instid0(VALU_DEP_2) | instskip(NEXT) | instid1(VALU_DEP_2)
	v_or_b32_e32 v4, 0x7f, v8
	v_cmpx_ne_u64_e32 0x7f800000, v[0:1]
	s_xor_b32 s14, exec_lo, s0
	s_cbranch_execz .LBB5_91
; %bb.93:                               ;   in Loop: Header=BB5_92 Depth=1
	v_and_b32_e32 v0, 0x7fffffff, v5
	s_mov_b32 s0, exec_lo
	s_delay_alu instid0(VALU_DEP_1)
	v_cmpx_gt_u64_e32 0x43700001, v[0:1]
	s_xor_b32 s15, exec_lo, s0
	s_cbranch_execz .LBB5_90
; %bb.94:                               ;   in Loop: Header=BB5_92 Depth=1
	v_mov_b32_e32 v4, 0
	s_mov_b32 s16, exec_lo
	v_cmpx_ne_u32_e32 0, v5
	s_cbranch_execz .LBB5_89
; %bb.95:                               ;   in Loop: Header=BB5_92 Depth=1
	v_bfe_u32 v13, v5, 23, 8
	v_and_b32_e32 v4, 0x7fffff, v5
	s_delay_alu instid0(VALU_DEP_2) | instskip(SKIP_2) | instid1(VALU_DEP_3)
	v_sub_nc_u32_e64 v0, 0x78, v13 clamp
	v_cmp_eq_u32_e32 vcc_lo, 0, v13
	v_add_nc_u32_e32 v13, 0xffffff89, v13
	v_cndmask_b32_e64 v14, v0, 0x77, vcc_lo
	v_or_b32_e32 v0, 0x800000, v4
	s_delay_alu instid0(VALU_DEP_1) | instskip(SKIP_1) | instid1(VALU_DEP_2)
	v_dual_cndmask_b32 v0, v0, v4 :: v_dual_add_nc_u32 v5, 20, v14
	v_add_nc_u32_e32 v9, 19, v14
	v_lshlrev_b64 v[4:5], v5, -1
	s_delay_alu instid0(VALU_DEP_3) | instskip(NEXT) | instid1(VALU_DEP_3)
	v_lshrrev_b64 v[11:12], v14, v[0:1]
	v_lshlrev_b64 v[9:10], v9, 1
	v_mov_b32_e32 v5, v1
	s_delay_alu instid0(VALU_DEP_4) | instskip(NEXT) | instid1(VALU_DEP_1)
	v_not_b32_e32 v4, v4
	v_and_b32_e32 v4, v0, v4
	v_and_b32_e32 v0, 0x100000, v11
	s_delay_alu instid0(VALU_DEP_2) | instskip(NEXT) | instid1(VALU_DEP_2)
	v_cmp_eq_u64_e64 s0, v[4:5], v[9:10]
	v_cmp_eq_u64_e64 s1, 0, v[0:1]
	v_cndmask_b32_e64 v0, v13, 0xffffff8a, vcc_lo
	v_lshrrev_b32_e32 v4, 23, v11
	s_delay_alu instid0(VALU_DEP_3) | instskip(NEXT) | instid1(VALU_DEP_1)
	s_and_b32 vcc_lo, s1, s0
	v_add3_u32 v9, v0, v14, v4
	v_subrev_co_ci_u32_e32 v5, vcc_lo, 0, v11, vcc_lo
	s_mov_b32 s0, exec_lo
	s_delay_alu instid0(VALU_DEP_2) | instskip(NEXT) | instid1(VALU_DEP_2)
	v_add_nc_u32_e32 v10, -1, v9
	v_and_b32_e32 v0, 0xfffff, v5
	s_delay_alu instid0(VALU_DEP_1) | instskip(SKIP_1) | instid1(VALU_DEP_4)
	v_add_co_u32 v4, vcc_lo, v0, v11
	v_add_co_ci_u32_e32 v5, vcc_lo, 0, v12, vcc_lo
                                        ; implicit-def: $vgpr0
	v_cmpx_ne_u32_e32 0, v10
	s_xor_b32 s0, exec_lo, s0
; %bb.96:                               ;   in Loop: Header=BB5_92 Depth=1
	s_delay_alu instid0(VALU_DEP_3) | instskip(SKIP_1) | instid1(VALU_DEP_2)
	v_and_b32_e32 v0, 0x1000000, v4
	v_bfe_u32 v11, v4, 24, 1
	v_cmp_eq_u64_e32 vcc_lo, 0, v[0:1]
	s_delay_alu instid0(VALU_DEP_2)
	v_lshrrev_b64 v[4:5], v11, v[4:5]
	v_cndmask_b32_e32 v0, v9, v10, vcc_lo
; %bb.97:                               ;   in Loop: Header=BB5_92 Depth=1
	s_and_not1_saveexec_b32 s0, s0
	s_cbranch_execz .LBB5_88
; %bb.98:                               ;   in Loop: Header=BB5_92 Depth=1
	s_delay_alu instid0(VALU_DEP_2)
	v_bfe_u32 v0, v4, 23, 1
	s_branch .LBB5_88
.LBB5_99:
	s_nop 0
	s_sendmsg sendmsg(MSG_DEALLOC_VGPRS)
	s_endpgm
	.section	.rodata,"a",@progbits
	.p2align	6, 0x0
	.amdhsa_kernel _ZN4vllm24act_and_mul_quant_kernelIN3c108BFloat16ETnPFT_RKS3_EXadL_ZNS_11silu_kernelIS2_EES3_S5_EENS1_15Float8_e4m3fnuzEEEvPT1_PS4_PKfi
		.amdhsa_group_segment_fixed_size 0
		.amdhsa_private_segment_fixed_size 0
		.amdhsa_kernarg_size 288
		.amdhsa_user_sgpr_count 14
		.amdhsa_user_sgpr_dispatch_ptr 0
		.amdhsa_user_sgpr_queue_ptr 0
		.amdhsa_user_sgpr_kernarg_segment_ptr 1
		.amdhsa_user_sgpr_dispatch_id 0
		.amdhsa_user_sgpr_private_segment_size 0
		.amdhsa_wavefront_size32 1
		.amdhsa_uses_dynamic_stack 0
		.amdhsa_enable_private_segment 0
		.amdhsa_system_sgpr_workgroup_id_x 1
		.amdhsa_system_sgpr_workgroup_id_y 1
		.amdhsa_system_sgpr_workgroup_id_z 0
		.amdhsa_system_sgpr_workgroup_info 0
		.amdhsa_system_vgpr_workitem_id 0
		.amdhsa_next_free_vgpr 28
		.amdhsa_next_free_sgpr 29
		.amdhsa_reserve_vcc 1
		.amdhsa_float_round_mode_32 0
		.amdhsa_float_round_mode_16_64 0
		.amdhsa_float_denorm_mode_32 3
		.amdhsa_float_denorm_mode_16_64 3
		.amdhsa_dx10_clamp 1
		.amdhsa_ieee_mode 1
		.amdhsa_fp16_overflow 0
		.amdhsa_workgroup_processor_mode 1
		.amdhsa_memory_ordered 1
		.amdhsa_forward_progress 0
		.amdhsa_shared_vgpr_count 0
		.amdhsa_exception_fp_ieee_invalid_op 0
		.amdhsa_exception_fp_denorm_src 0
		.amdhsa_exception_fp_ieee_div_zero 0
		.amdhsa_exception_fp_ieee_overflow 0
		.amdhsa_exception_fp_ieee_underflow 0
		.amdhsa_exception_fp_ieee_inexact 0
		.amdhsa_exception_int_div_zero 0
	.end_amdhsa_kernel
	.section	.text._ZN4vllm24act_and_mul_quant_kernelIN3c108BFloat16ETnPFT_RKS3_EXadL_ZNS_11silu_kernelIS2_EES3_S5_EENS1_15Float8_e4m3fnuzEEEvPT1_PS4_PKfi,"axG",@progbits,_ZN4vllm24act_and_mul_quant_kernelIN3c108BFloat16ETnPFT_RKS3_EXadL_ZNS_11silu_kernelIS2_EES3_S5_EENS1_15Float8_e4m3fnuzEEEvPT1_PS4_PKfi,comdat
.Lfunc_end5:
	.size	_ZN4vllm24act_and_mul_quant_kernelIN3c108BFloat16ETnPFT_RKS3_EXadL_ZNS_11silu_kernelIS2_EES3_S5_EENS1_15Float8_e4m3fnuzEEEvPT1_PS4_PKfi, .Lfunc_end5-_ZN4vllm24act_and_mul_quant_kernelIN3c108BFloat16ETnPFT_RKS3_EXadL_ZNS_11silu_kernelIS2_EES3_S5_EENS1_15Float8_e4m3fnuzEEEvPT1_PS4_PKfi
                                        ; -- End function
	.section	.AMDGPU.csdata,"",@progbits
; Kernel info:
; codeLenInByte = 9328
; NumSgprs: 31
; NumVgprs: 28
; ScratchSize: 0
; MemoryBound: 0
; FloatMode: 240
; IeeeMode: 1
; LDSByteSize: 0 bytes/workgroup (compile time only)
; SGPRBlocks: 3
; VGPRBlocks: 3
; NumSGPRsForWavesPerEU: 31
; NumVGPRsForWavesPerEU: 28
; Occupancy: 16
; WaveLimiterHint : 0
; COMPUTE_PGM_RSRC2:SCRATCH_EN: 0
; COMPUTE_PGM_RSRC2:USER_SGPR: 14
; COMPUTE_PGM_RSRC2:TRAP_HANDLER: 0
; COMPUTE_PGM_RSRC2:TGID_X_EN: 1
; COMPUTE_PGM_RSRC2:TGID_Y_EN: 1
; COMPUTE_PGM_RSRC2:TGID_Z_EN: 0
; COMPUTE_PGM_RSRC2:TIDIG_COMP_CNT: 0
	.text
	.p2alignl 7, 3214868480
	.fill 96, 4, 3214868480
	.type	__hip_cuid_f4aa00fef8b8837a,@object ; @__hip_cuid_f4aa00fef8b8837a
	.section	.bss,"aw",@nobits
	.globl	__hip_cuid_f4aa00fef8b8837a
__hip_cuid_f4aa00fef8b8837a:
	.byte	0                               ; 0x0
	.size	__hip_cuid_f4aa00fef8b8837a, 1

	.ident	"AMD clang version 19.0.0git (https://github.com/RadeonOpenCompute/llvm-project roc-6.4.0 25133 c7fe45cf4b819c5991fe208aaa96edf142730f1d)"
	.section	".note.GNU-stack","",@progbits
	.addrsig
	.addrsig_sym __hip_cuid_f4aa00fef8b8837a
	.amdgpu_metadata
---
amdhsa.kernels:
  - .args:
      - .actual_access:  write_only
        .address_space:  global
        .offset:         0
        .size:           8
        .value_kind:     global_buffer
      - .actual_access:  read_only
        .address_space:  global
        .offset:         8
        .size:           8
        .value_kind:     global_buffer
      - .address_space:  global
        .offset:         16
        .size:           8
        .value_kind:     global_buffer
      - .offset:         24
        .size:           4
        .value_kind:     by_value
      - .offset:         32
        .size:           4
        .value_kind:     hidden_block_count_x
      - .offset:         36
        .size:           4
        .value_kind:     hidden_block_count_y
      - .offset:         40
        .size:           4
        .value_kind:     hidden_block_count_z
      - .offset:         44
        .size:           2
        .value_kind:     hidden_group_size_x
      - .offset:         46
        .size:           2
        .value_kind:     hidden_group_size_y
      - .offset:         48
        .size:           2
        .value_kind:     hidden_group_size_z
      - .offset:         50
        .size:           2
        .value_kind:     hidden_remainder_x
      - .offset:         52
        .size:           2
        .value_kind:     hidden_remainder_y
      - .offset:         54
        .size:           2
        .value_kind:     hidden_remainder_z
      - .offset:         72
        .size:           8
        .value_kind:     hidden_global_offset_x
      - .offset:         80
        .size:           8
        .value_kind:     hidden_global_offset_y
      - .offset:         88
        .size:           8
        .value_kind:     hidden_global_offset_z
      - .offset:         96
        .size:           2
        .value_kind:     hidden_grid_dims
    .group_segment_fixed_size: 0
    .kernarg_segment_align: 8
    .kernarg_segment_size: 288
    .language:       OpenCL C
    .language_version:
      - 2
      - 0
    .max_flat_workgroup_size: 1024
    .name:           _ZN4vllm24act_and_mul_quant_kernelIfTnPFT_RKS1_EXadL_ZNS_11silu_kernelIfEES1_S3_EEN3c1013Float8_e4m3fnEEEvPT1_PS2_PKfi
    .private_segment_fixed_size: 0
    .sgpr_count:     31
    .sgpr_spill_count: 0
    .symbol:         _ZN4vllm24act_and_mul_quant_kernelIfTnPFT_RKS1_EXadL_ZNS_11silu_kernelIfEES1_S3_EEN3c1013Float8_e4m3fnEEEvPT1_PS2_PKfi.kd
    .uniform_work_group_size: 1
    .uses_dynamic_stack: false
    .vgpr_count:     26
    .vgpr_spill_count: 0
    .wavefront_size: 32
    .workgroup_processor_mode: 1
  - .args:
      - .actual_access:  write_only
        .address_space:  global
        .offset:         0
        .size:           8
        .value_kind:     global_buffer
      - .actual_access:  read_only
        .address_space:  global
        .offset:         8
        .size:           8
        .value_kind:     global_buffer
      - .address_space:  global
        .offset:         16
        .size:           8
        .value_kind:     global_buffer
      - .offset:         24
        .size:           4
        .value_kind:     by_value
      - .offset:         32
        .size:           4
        .value_kind:     hidden_block_count_x
      - .offset:         36
        .size:           4
        .value_kind:     hidden_block_count_y
      - .offset:         40
        .size:           4
        .value_kind:     hidden_block_count_z
      - .offset:         44
        .size:           2
        .value_kind:     hidden_group_size_x
      - .offset:         46
        .size:           2
        .value_kind:     hidden_group_size_y
      - .offset:         48
        .size:           2
        .value_kind:     hidden_group_size_z
      - .offset:         50
        .size:           2
        .value_kind:     hidden_remainder_x
      - .offset:         52
        .size:           2
        .value_kind:     hidden_remainder_y
      - .offset:         54
        .size:           2
        .value_kind:     hidden_remainder_z
      - .offset:         72
        .size:           8
        .value_kind:     hidden_global_offset_x
      - .offset:         80
        .size:           8
        .value_kind:     hidden_global_offset_y
      - .offset:         88
        .size:           8
        .value_kind:     hidden_global_offset_z
      - .offset:         96
        .size:           2
        .value_kind:     hidden_grid_dims
    .group_segment_fixed_size: 0
    .kernarg_segment_align: 8
    .kernarg_segment_size: 288
    .language:       OpenCL C
    .language_version:
      - 2
      - 0
    .max_flat_workgroup_size: 1024
    .name:           _ZN4vllm24act_and_mul_quant_kernelIfTnPFT_RKS1_EXadL_ZNS_11silu_kernelIfEES1_S3_EEN3c1015Float8_e4m3fnuzEEEvPT1_PS2_PKfi
    .private_segment_fixed_size: 0
    .sgpr_count:     31
    .sgpr_spill_count: 0
    .symbol:         _ZN4vllm24act_and_mul_quant_kernelIfTnPFT_RKS1_EXadL_ZNS_11silu_kernelIfEES1_S3_EEN3c1015Float8_e4m3fnuzEEEvPT1_PS2_PKfi.kd
    .uniform_work_group_size: 1
    .uses_dynamic_stack: false
    .vgpr_count:     26
    .vgpr_spill_count: 0
    .wavefront_size: 32
    .workgroup_processor_mode: 1
  - .args:
      - .actual_access:  write_only
        .address_space:  global
        .offset:         0
        .size:           8
        .value_kind:     global_buffer
      - .actual_access:  read_only
        .address_space:  global
        .offset:         8
        .size:           8
        .value_kind:     global_buffer
      - .address_space:  global
        .offset:         16
        .size:           8
        .value_kind:     global_buffer
      - .offset:         24
        .size:           4
        .value_kind:     by_value
      - .offset:         32
        .size:           4
        .value_kind:     hidden_block_count_x
      - .offset:         36
        .size:           4
        .value_kind:     hidden_block_count_y
      - .offset:         40
        .size:           4
        .value_kind:     hidden_block_count_z
      - .offset:         44
        .size:           2
        .value_kind:     hidden_group_size_x
      - .offset:         46
        .size:           2
        .value_kind:     hidden_group_size_y
      - .offset:         48
        .size:           2
        .value_kind:     hidden_group_size_z
      - .offset:         50
        .size:           2
        .value_kind:     hidden_remainder_x
      - .offset:         52
        .size:           2
        .value_kind:     hidden_remainder_y
      - .offset:         54
        .size:           2
        .value_kind:     hidden_remainder_z
      - .offset:         72
        .size:           8
        .value_kind:     hidden_global_offset_x
      - .offset:         80
        .size:           8
        .value_kind:     hidden_global_offset_y
      - .offset:         88
        .size:           8
        .value_kind:     hidden_global_offset_z
      - .offset:         96
        .size:           2
        .value_kind:     hidden_grid_dims
    .group_segment_fixed_size: 0
    .kernarg_segment_align: 8
    .kernarg_segment_size: 288
    .language:       OpenCL C
    .language_version:
      - 2
      - 0
    .max_flat_workgroup_size: 1024
    .name:           _ZN4vllm24act_and_mul_quant_kernelIN3c104HalfETnPFT_RKS3_EXadL_ZNS_11silu_kernelIS2_EES3_S5_EENS1_13Float8_e4m3fnEEEvPT1_PS4_PKfi
    .private_segment_fixed_size: 0
    .sgpr_count:     33
    .sgpr_spill_count: 0
    .symbol:         _ZN4vllm24act_and_mul_quant_kernelIN3c104HalfETnPFT_RKS3_EXadL_ZNS_11silu_kernelIS2_EES3_S5_EENS1_13Float8_e4m3fnEEEvPT1_PS4_PKfi.kd
    .uniform_work_group_size: 1
    .uses_dynamic_stack: false
    .vgpr_count:     28
    .vgpr_spill_count: 0
    .wavefront_size: 32
    .workgroup_processor_mode: 1
  - .args:
      - .actual_access:  write_only
        .address_space:  global
        .offset:         0
        .size:           8
        .value_kind:     global_buffer
      - .actual_access:  read_only
        .address_space:  global
        .offset:         8
        .size:           8
        .value_kind:     global_buffer
      - .address_space:  global
        .offset:         16
        .size:           8
        .value_kind:     global_buffer
      - .offset:         24
        .size:           4
        .value_kind:     by_value
      - .offset:         32
        .size:           4
        .value_kind:     hidden_block_count_x
      - .offset:         36
        .size:           4
        .value_kind:     hidden_block_count_y
      - .offset:         40
        .size:           4
        .value_kind:     hidden_block_count_z
      - .offset:         44
        .size:           2
        .value_kind:     hidden_group_size_x
      - .offset:         46
        .size:           2
        .value_kind:     hidden_group_size_y
      - .offset:         48
        .size:           2
        .value_kind:     hidden_group_size_z
      - .offset:         50
        .size:           2
        .value_kind:     hidden_remainder_x
      - .offset:         52
        .size:           2
        .value_kind:     hidden_remainder_y
      - .offset:         54
        .size:           2
        .value_kind:     hidden_remainder_z
      - .offset:         72
        .size:           8
        .value_kind:     hidden_global_offset_x
      - .offset:         80
        .size:           8
        .value_kind:     hidden_global_offset_y
      - .offset:         88
        .size:           8
        .value_kind:     hidden_global_offset_z
      - .offset:         96
        .size:           2
        .value_kind:     hidden_grid_dims
    .group_segment_fixed_size: 0
    .kernarg_segment_align: 8
    .kernarg_segment_size: 288
    .language:       OpenCL C
    .language_version:
      - 2
      - 0
    .max_flat_workgroup_size: 1024
    .name:           _ZN4vllm24act_and_mul_quant_kernelIN3c104HalfETnPFT_RKS3_EXadL_ZNS_11silu_kernelIS2_EES3_S5_EENS1_15Float8_e4m3fnuzEEEvPT1_PS4_PKfi
    .private_segment_fixed_size: 0
    .sgpr_count:     33
    .sgpr_spill_count: 0
    .symbol:         _ZN4vllm24act_and_mul_quant_kernelIN3c104HalfETnPFT_RKS3_EXadL_ZNS_11silu_kernelIS2_EES3_S5_EENS1_15Float8_e4m3fnuzEEEvPT1_PS4_PKfi.kd
    .uniform_work_group_size: 1
    .uses_dynamic_stack: false
    .vgpr_count:     28
    .vgpr_spill_count: 0
    .wavefront_size: 32
    .workgroup_processor_mode: 1
  - .args:
      - .actual_access:  write_only
        .address_space:  global
        .offset:         0
        .size:           8
        .value_kind:     global_buffer
      - .actual_access:  read_only
        .address_space:  global
        .offset:         8
        .size:           8
        .value_kind:     global_buffer
      - .address_space:  global
        .offset:         16
        .size:           8
        .value_kind:     global_buffer
      - .offset:         24
        .size:           4
        .value_kind:     by_value
      - .offset:         32
        .size:           4
        .value_kind:     hidden_block_count_x
      - .offset:         36
        .size:           4
        .value_kind:     hidden_block_count_y
      - .offset:         40
        .size:           4
        .value_kind:     hidden_block_count_z
      - .offset:         44
        .size:           2
        .value_kind:     hidden_group_size_x
      - .offset:         46
        .size:           2
        .value_kind:     hidden_group_size_y
      - .offset:         48
        .size:           2
        .value_kind:     hidden_group_size_z
      - .offset:         50
        .size:           2
        .value_kind:     hidden_remainder_x
      - .offset:         52
        .size:           2
        .value_kind:     hidden_remainder_y
      - .offset:         54
        .size:           2
        .value_kind:     hidden_remainder_z
      - .offset:         72
        .size:           8
        .value_kind:     hidden_global_offset_x
      - .offset:         80
        .size:           8
        .value_kind:     hidden_global_offset_y
      - .offset:         88
        .size:           8
        .value_kind:     hidden_global_offset_z
      - .offset:         96
        .size:           2
        .value_kind:     hidden_grid_dims
    .group_segment_fixed_size: 0
    .kernarg_segment_align: 8
    .kernarg_segment_size: 288
    .language:       OpenCL C
    .language_version:
      - 2
      - 0
    .max_flat_workgroup_size: 1024
    .name:           _ZN4vllm24act_and_mul_quant_kernelIN3c108BFloat16ETnPFT_RKS3_EXadL_ZNS_11silu_kernelIS2_EES3_S5_EENS1_13Float8_e4m3fnEEEvPT1_PS4_PKfi
    .private_segment_fixed_size: 0
    .sgpr_count:     37
    .sgpr_spill_count: 0
    .symbol:         _ZN4vllm24act_and_mul_quant_kernelIN3c108BFloat16ETnPFT_RKS3_EXadL_ZNS_11silu_kernelIS2_EES3_S5_EENS1_13Float8_e4m3fnEEEvPT1_PS4_PKfi.kd
    .uniform_work_group_size: 1
    .uses_dynamic_stack: false
    .vgpr_count:     44
    .vgpr_spill_count: 0
    .wavefront_size: 32
    .workgroup_processor_mode: 1
  - .args:
      - .actual_access:  write_only
        .address_space:  global
        .offset:         0
        .size:           8
        .value_kind:     global_buffer
      - .actual_access:  read_only
        .address_space:  global
        .offset:         8
        .size:           8
        .value_kind:     global_buffer
      - .address_space:  global
        .offset:         16
        .size:           8
        .value_kind:     global_buffer
      - .offset:         24
        .size:           4
        .value_kind:     by_value
      - .offset:         32
        .size:           4
        .value_kind:     hidden_block_count_x
      - .offset:         36
        .size:           4
        .value_kind:     hidden_block_count_y
      - .offset:         40
        .size:           4
        .value_kind:     hidden_block_count_z
      - .offset:         44
        .size:           2
        .value_kind:     hidden_group_size_x
      - .offset:         46
        .size:           2
        .value_kind:     hidden_group_size_y
      - .offset:         48
        .size:           2
        .value_kind:     hidden_group_size_z
      - .offset:         50
        .size:           2
        .value_kind:     hidden_remainder_x
      - .offset:         52
        .size:           2
        .value_kind:     hidden_remainder_y
      - .offset:         54
        .size:           2
        .value_kind:     hidden_remainder_z
      - .offset:         72
        .size:           8
        .value_kind:     hidden_global_offset_x
      - .offset:         80
        .size:           8
        .value_kind:     hidden_global_offset_y
      - .offset:         88
        .size:           8
        .value_kind:     hidden_global_offset_z
      - .offset:         96
        .size:           2
        .value_kind:     hidden_grid_dims
    .group_segment_fixed_size: 0
    .kernarg_segment_align: 8
    .kernarg_segment_size: 288
    .language:       OpenCL C
    .language_version:
      - 2
      - 0
    .max_flat_workgroup_size: 1024
    .name:           _ZN4vllm24act_and_mul_quant_kernelIN3c108BFloat16ETnPFT_RKS3_EXadL_ZNS_11silu_kernelIS2_EES3_S5_EENS1_15Float8_e4m3fnuzEEEvPT1_PS4_PKfi
    .private_segment_fixed_size: 0
    .sgpr_count:     31
    .sgpr_spill_count: 0
    .symbol:         _ZN4vllm24act_and_mul_quant_kernelIN3c108BFloat16ETnPFT_RKS3_EXadL_ZNS_11silu_kernelIS2_EES3_S5_EENS1_15Float8_e4m3fnuzEEEvPT1_PS4_PKfi.kd
    .uniform_work_group_size: 1
    .uses_dynamic_stack: false
    .vgpr_count:     28
    .vgpr_spill_count: 0
    .wavefront_size: 32
    .workgroup_processor_mode: 1
amdhsa.target:   amdgcn-amd-amdhsa--gfx1100
amdhsa.version:
  - 1
  - 2
...

	.end_amdgpu_metadata
